;; amdgpu-corpus repo=ROCm/rocThrust kind=compiled arch=gfx1030 opt=O3
	.amdgcn_target "amdgcn-amd-amdhsa--gfx1030"
	.amdhsa_code_object_version 6
	.section	.text._ZN6thrust23THRUST_200600_302600_NS11hip_rocprim14__parallel_for6kernelILj256ENS1_20__uninitialized_fill7functorINS0_10device_ptrIiEEiEEmLj1EEEvT0_T1_SA_,"axG",@progbits,_ZN6thrust23THRUST_200600_302600_NS11hip_rocprim14__parallel_for6kernelILj256ENS1_20__uninitialized_fill7functorINS0_10device_ptrIiEEiEEmLj1EEEvT0_T1_SA_,comdat
	.protected	_ZN6thrust23THRUST_200600_302600_NS11hip_rocprim14__parallel_for6kernelILj256ENS1_20__uninitialized_fill7functorINS0_10device_ptrIiEEiEEmLj1EEEvT0_T1_SA_ ; -- Begin function _ZN6thrust23THRUST_200600_302600_NS11hip_rocprim14__parallel_for6kernelILj256ENS1_20__uninitialized_fill7functorINS0_10device_ptrIiEEiEEmLj1EEEvT0_T1_SA_
	.globl	_ZN6thrust23THRUST_200600_302600_NS11hip_rocprim14__parallel_for6kernelILj256ENS1_20__uninitialized_fill7functorINS0_10device_ptrIiEEiEEmLj1EEEvT0_T1_SA_
	.p2align	8
	.type	_ZN6thrust23THRUST_200600_302600_NS11hip_rocprim14__parallel_for6kernelILj256ENS1_20__uninitialized_fill7functorINS0_10device_ptrIiEEiEEmLj1EEEvT0_T1_SA_,@function
_ZN6thrust23THRUST_200600_302600_NS11hip_rocprim14__parallel_for6kernelILj256ENS1_20__uninitialized_fill7functorINS0_10device_ptrIiEEiEEmLj1EEEvT0_T1_SA_: ; @_ZN6thrust23THRUST_200600_302600_NS11hip_rocprim14__parallel_for6kernelILj256ENS1_20__uninitialized_fill7functorINS0_10device_ptrIiEEiEEmLj1EEEvT0_T1_SA_
; %bb.0:
	s_clause 0x2
	s_load_dwordx4 s[8:11], s[4:5], 0x10
	s_load_dwordx2 s[0:1], s[4:5], 0x0
	s_load_dword s7, s[4:5], 0x8
	s_lshl_b32 s2, s6, 8
	s_waitcnt lgkmcnt(0)
	s_add_u32 s2, s10, s2
	s_addc_u32 s3, s11, 0
	s_sub_u32 s4, s8, s2
	s_subb_u32 s5, s9, s3
	v_cmp_lt_u64_e64 s5, 0xff, s[4:5]
	s_and_b32 vcc_lo, exec_lo, s5
	s_mov_b32 s5, -1
	s_cbranch_vccz .LBB0_3
; %bb.1:
	s_andn2_b32 vcc_lo, exec_lo, s5
	s_cbranch_vccz .LBB0_6
.LBB0_2:
	s_endpgm
.LBB0_3:
	v_cmp_gt_u32_e32 vcc_lo, s4, v0
	s_and_saveexec_b32 s4, vcc_lo
	s_cbranch_execz .LBB0_5
; %bb.4:
	v_lshlrev_b32_e32 v1, 2, v0
	s_lshl_b64 s[8:9], s[2:3], 2
	v_mov_b32_e32 v3, s7
	s_add_u32 s5, s0, s8
	s_addc_u32 s6, s1, s9
	v_add_co_u32 v1, s5, s5, v1
	v_add_co_ci_u32_e64 v2, null, s6, 0, s5
	flat_store_dword v[1:2], v3
.LBB0_5:
	s_or_b32 exec_lo, exec_lo, s4
	s_cbranch_execnz .LBB0_2
.LBB0_6:
	v_lshlrev_b32_e32 v0, 2, v0
	s_lshl_b64 s[2:3], s[2:3], 2
	v_mov_b32_e32 v2, s7
	s_add_u32 s0, s0, s2
	s_addc_u32 s1, s1, s3
	v_add_co_u32 v0, s0, s0, v0
	v_add_co_ci_u32_e64 v1, null, s1, 0, s0
	flat_store_dword v[0:1], v2
	s_endpgm
	.section	.rodata,"a",@progbits
	.p2align	6, 0x0
	.amdhsa_kernel _ZN6thrust23THRUST_200600_302600_NS11hip_rocprim14__parallel_for6kernelILj256ENS1_20__uninitialized_fill7functorINS0_10device_ptrIiEEiEEmLj1EEEvT0_T1_SA_
		.amdhsa_group_segment_fixed_size 0
		.amdhsa_private_segment_fixed_size 0
		.amdhsa_kernarg_size 32
		.amdhsa_user_sgpr_count 6
		.amdhsa_user_sgpr_private_segment_buffer 1
		.amdhsa_user_sgpr_dispatch_ptr 0
		.amdhsa_user_sgpr_queue_ptr 0
		.amdhsa_user_sgpr_kernarg_segment_ptr 1
		.amdhsa_user_sgpr_dispatch_id 0
		.amdhsa_user_sgpr_flat_scratch_init 0
		.amdhsa_user_sgpr_private_segment_size 0
		.amdhsa_wavefront_size32 1
		.amdhsa_uses_dynamic_stack 0
		.amdhsa_system_sgpr_private_segment_wavefront_offset 0
		.amdhsa_system_sgpr_workgroup_id_x 1
		.amdhsa_system_sgpr_workgroup_id_y 0
		.amdhsa_system_sgpr_workgroup_id_z 0
		.amdhsa_system_sgpr_workgroup_info 0
		.amdhsa_system_vgpr_workitem_id 0
		.amdhsa_next_free_vgpr 4
		.amdhsa_next_free_sgpr 12
		.amdhsa_reserve_vcc 1
		.amdhsa_reserve_flat_scratch 0
		.amdhsa_float_round_mode_32 0
		.amdhsa_float_round_mode_16_64 0
		.amdhsa_float_denorm_mode_32 3
		.amdhsa_float_denorm_mode_16_64 3
		.amdhsa_dx10_clamp 1
		.amdhsa_ieee_mode 1
		.amdhsa_fp16_overflow 0
		.amdhsa_workgroup_processor_mode 1
		.amdhsa_memory_ordered 1
		.amdhsa_forward_progress 1
		.amdhsa_shared_vgpr_count 0
		.amdhsa_exception_fp_ieee_invalid_op 0
		.amdhsa_exception_fp_denorm_src 0
		.amdhsa_exception_fp_ieee_div_zero 0
		.amdhsa_exception_fp_ieee_overflow 0
		.amdhsa_exception_fp_ieee_underflow 0
		.amdhsa_exception_fp_ieee_inexact 0
		.amdhsa_exception_int_div_zero 0
	.end_amdhsa_kernel
	.section	.text._ZN6thrust23THRUST_200600_302600_NS11hip_rocprim14__parallel_for6kernelILj256ENS1_20__uninitialized_fill7functorINS0_10device_ptrIiEEiEEmLj1EEEvT0_T1_SA_,"axG",@progbits,_ZN6thrust23THRUST_200600_302600_NS11hip_rocprim14__parallel_for6kernelILj256ENS1_20__uninitialized_fill7functorINS0_10device_ptrIiEEiEEmLj1EEEvT0_T1_SA_,comdat
.Lfunc_end0:
	.size	_ZN6thrust23THRUST_200600_302600_NS11hip_rocprim14__parallel_for6kernelILj256ENS1_20__uninitialized_fill7functorINS0_10device_ptrIiEEiEEmLj1EEEvT0_T1_SA_, .Lfunc_end0-_ZN6thrust23THRUST_200600_302600_NS11hip_rocprim14__parallel_for6kernelILj256ENS1_20__uninitialized_fill7functorINS0_10device_ptrIiEEiEEmLj1EEEvT0_T1_SA_
                                        ; -- End function
	.set _ZN6thrust23THRUST_200600_302600_NS11hip_rocprim14__parallel_for6kernelILj256ENS1_20__uninitialized_fill7functorINS0_10device_ptrIiEEiEEmLj1EEEvT0_T1_SA_.num_vgpr, 4
	.set _ZN6thrust23THRUST_200600_302600_NS11hip_rocprim14__parallel_for6kernelILj256ENS1_20__uninitialized_fill7functorINS0_10device_ptrIiEEiEEmLj1EEEvT0_T1_SA_.num_agpr, 0
	.set _ZN6thrust23THRUST_200600_302600_NS11hip_rocprim14__parallel_for6kernelILj256ENS1_20__uninitialized_fill7functorINS0_10device_ptrIiEEiEEmLj1EEEvT0_T1_SA_.numbered_sgpr, 12
	.set _ZN6thrust23THRUST_200600_302600_NS11hip_rocprim14__parallel_for6kernelILj256ENS1_20__uninitialized_fill7functorINS0_10device_ptrIiEEiEEmLj1EEEvT0_T1_SA_.num_named_barrier, 0
	.set _ZN6thrust23THRUST_200600_302600_NS11hip_rocprim14__parallel_for6kernelILj256ENS1_20__uninitialized_fill7functorINS0_10device_ptrIiEEiEEmLj1EEEvT0_T1_SA_.private_seg_size, 0
	.set _ZN6thrust23THRUST_200600_302600_NS11hip_rocprim14__parallel_for6kernelILj256ENS1_20__uninitialized_fill7functorINS0_10device_ptrIiEEiEEmLj1EEEvT0_T1_SA_.uses_vcc, 1
	.set _ZN6thrust23THRUST_200600_302600_NS11hip_rocprim14__parallel_for6kernelILj256ENS1_20__uninitialized_fill7functorINS0_10device_ptrIiEEiEEmLj1EEEvT0_T1_SA_.uses_flat_scratch, 0
	.set _ZN6thrust23THRUST_200600_302600_NS11hip_rocprim14__parallel_for6kernelILj256ENS1_20__uninitialized_fill7functorINS0_10device_ptrIiEEiEEmLj1EEEvT0_T1_SA_.has_dyn_sized_stack, 0
	.set _ZN6thrust23THRUST_200600_302600_NS11hip_rocprim14__parallel_for6kernelILj256ENS1_20__uninitialized_fill7functorINS0_10device_ptrIiEEiEEmLj1EEEvT0_T1_SA_.has_recursion, 0
	.set _ZN6thrust23THRUST_200600_302600_NS11hip_rocprim14__parallel_for6kernelILj256ENS1_20__uninitialized_fill7functorINS0_10device_ptrIiEEiEEmLj1EEEvT0_T1_SA_.has_indirect_call, 0
	.section	.AMDGPU.csdata,"",@progbits
; Kernel info:
; codeLenInByte = 200
; TotalNumSgprs: 14
; NumVgprs: 4
; ScratchSize: 0
; MemoryBound: 0
; FloatMode: 240
; IeeeMode: 1
; LDSByteSize: 0 bytes/workgroup (compile time only)
; SGPRBlocks: 0
; VGPRBlocks: 0
; NumSGPRsForWavesPerEU: 14
; NumVGPRsForWavesPerEU: 4
; Occupancy: 16
; WaveLimiterHint : 0
; COMPUTE_PGM_RSRC2:SCRATCH_EN: 0
; COMPUTE_PGM_RSRC2:USER_SGPR: 6
; COMPUTE_PGM_RSRC2:TRAP_HANDLER: 0
; COMPUTE_PGM_RSRC2:TGID_X_EN: 1
; COMPUTE_PGM_RSRC2:TGID_Y_EN: 0
; COMPUTE_PGM_RSRC2:TGID_Z_EN: 0
; COMPUTE_PGM_RSRC2:TIDIG_COMP_CNT: 0
	.section	.text._ZN6thrust23THRUST_200600_302600_NS11hip_rocprim14__parallel_for6kernelILj256ENS1_20__uninitialized_fill7functorINS0_10device_ptrIfEEfEEmLj1EEEvT0_T1_SA_,"axG",@progbits,_ZN6thrust23THRUST_200600_302600_NS11hip_rocprim14__parallel_for6kernelILj256ENS1_20__uninitialized_fill7functorINS0_10device_ptrIfEEfEEmLj1EEEvT0_T1_SA_,comdat
	.protected	_ZN6thrust23THRUST_200600_302600_NS11hip_rocprim14__parallel_for6kernelILj256ENS1_20__uninitialized_fill7functorINS0_10device_ptrIfEEfEEmLj1EEEvT0_T1_SA_ ; -- Begin function _ZN6thrust23THRUST_200600_302600_NS11hip_rocprim14__parallel_for6kernelILj256ENS1_20__uninitialized_fill7functorINS0_10device_ptrIfEEfEEmLj1EEEvT0_T1_SA_
	.globl	_ZN6thrust23THRUST_200600_302600_NS11hip_rocprim14__parallel_for6kernelILj256ENS1_20__uninitialized_fill7functorINS0_10device_ptrIfEEfEEmLj1EEEvT0_T1_SA_
	.p2align	8
	.type	_ZN6thrust23THRUST_200600_302600_NS11hip_rocprim14__parallel_for6kernelILj256ENS1_20__uninitialized_fill7functorINS0_10device_ptrIfEEfEEmLj1EEEvT0_T1_SA_,@function
_ZN6thrust23THRUST_200600_302600_NS11hip_rocprim14__parallel_for6kernelILj256ENS1_20__uninitialized_fill7functorINS0_10device_ptrIfEEfEEmLj1EEEvT0_T1_SA_: ; @_ZN6thrust23THRUST_200600_302600_NS11hip_rocprim14__parallel_for6kernelILj256ENS1_20__uninitialized_fill7functorINS0_10device_ptrIfEEfEEmLj1EEEvT0_T1_SA_
; %bb.0:
	s_clause 0x2
	s_load_dwordx4 s[8:11], s[4:5], 0x10
	s_load_dwordx2 s[0:1], s[4:5], 0x0
	s_load_dword s7, s[4:5], 0x8
	s_lshl_b32 s2, s6, 8
	s_waitcnt lgkmcnt(0)
	s_add_u32 s2, s10, s2
	s_addc_u32 s3, s11, 0
	s_sub_u32 s4, s8, s2
	s_subb_u32 s5, s9, s3
	v_cmp_lt_u64_e64 s5, 0xff, s[4:5]
	s_and_b32 vcc_lo, exec_lo, s5
	s_mov_b32 s5, -1
	s_cbranch_vccz .LBB1_3
; %bb.1:
	s_andn2_b32 vcc_lo, exec_lo, s5
	s_cbranch_vccz .LBB1_6
.LBB1_2:
	s_endpgm
.LBB1_3:
	v_cmp_gt_u32_e32 vcc_lo, s4, v0
	s_and_saveexec_b32 s4, vcc_lo
	s_cbranch_execz .LBB1_5
; %bb.4:
	v_lshlrev_b32_e32 v1, 2, v0
	s_lshl_b64 s[8:9], s[2:3], 2
	v_mov_b32_e32 v3, s7
	s_add_u32 s5, s0, s8
	s_addc_u32 s6, s1, s9
	v_add_co_u32 v1, s5, s5, v1
	v_add_co_ci_u32_e64 v2, null, s6, 0, s5
	flat_store_dword v[1:2], v3
.LBB1_5:
	s_or_b32 exec_lo, exec_lo, s4
	s_cbranch_execnz .LBB1_2
.LBB1_6:
	v_lshlrev_b32_e32 v0, 2, v0
	s_lshl_b64 s[2:3], s[2:3], 2
	v_mov_b32_e32 v2, s7
	s_add_u32 s0, s0, s2
	s_addc_u32 s1, s1, s3
	v_add_co_u32 v0, s0, s0, v0
	v_add_co_ci_u32_e64 v1, null, s1, 0, s0
	flat_store_dword v[0:1], v2
	s_endpgm
	.section	.rodata,"a",@progbits
	.p2align	6, 0x0
	.amdhsa_kernel _ZN6thrust23THRUST_200600_302600_NS11hip_rocprim14__parallel_for6kernelILj256ENS1_20__uninitialized_fill7functorINS0_10device_ptrIfEEfEEmLj1EEEvT0_T1_SA_
		.amdhsa_group_segment_fixed_size 0
		.amdhsa_private_segment_fixed_size 0
		.amdhsa_kernarg_size 32
		.amdhsa_user_sgpr_count 6
		.amdhsa_user_sgpr_private_segment_buffer 1
		.amdhsa_user_sgpr_dispatch_ptr 0
		.amdhsa_user_sgpr_queue_ptr 0
		.amdhsa_user_sgpr_kernarg_segment_ptr 1
		.amdhsa_user_sgpr_dispatch_id 0
		.amdhsa_user_sgpr_flat_scratch_init 0
		.amdhsa_user_sgpr_private_segment_size 0
		.amdhsa_wavefront_size32 1
		.amdhsa_uses_dynamic_stack 0
		.amdhsa_system_sgpr_private_segment_wavefront_offset 0
		.amdhsa_system_sgpr_workgroup_id_x 1
		.amdhsa_system_sgpr_workgroup_id_y 0
		.amdhsa_system_sgpr_workgroup_id_z 0
		.amdhsa_system_sgpr_workgroup_info 0
		.amdhsa_system_vgpr_workitem_id 0
		.amdhsa_next_free_vgpr 4
		.amdhsa_next_free_sgpr 12
		.amdhsa_reserve_vcc 1
		.amdhsa_reserve_flat_scratch 0
		.amdhsa_float_round_mode_32 0
		.amdhsa_float_round_mode_16_64 0
		.amdhsa_float_denorm_mode_32 3
		.amdhsa_float_denorm_mode_16_64 3
		.amdhsa_dx10_clamp 1
		.amdhsa_ieee_mode 1
		.amdhsa_fp16_overflow 0
		.amdhsa_workgroup_processor_mode 1
		.amdhsa_memory_ordered 1
		.amdhsa_forward_progress 1
		.amdhsa_shared_vgpr_count 0
		.amdhsa_exception_fp_ieee_invalid_op 0
		.amdhsa_exception_fp_denorm_src 0
		.amdhsa_exception_fp_ieee_div_zero 0
		.amdhsa_exception_fp_ieee_overflow 0
		.amdhsa_exception_fp_ieee_underflow 0
		.amdhsa_exception_fp_ieee_inexact 0
		.amdhsa_exception_int_div_zero 0
	.end_amdhsa_kernel
	.section	.text._ZN6thrust23THRUST_200600_302600_NS11hip_rocprim14__parallel_for6kernelILj256ENS1_20__uninitialized_fill7functorINS0_10device_ptrIfEEfEEmLj1EEEvT0_T1_SA_,"axG",@progbits,_ZN6thrust23THRUST_200600_302600_NS11hip_rocprim14__parallel_for6kernelILj256ENS1_20__uninitialized_fill7functorINS0_10device_ptrIfEEfEEmLj1EEEvT0_T1_SA_,comdat
.Lfunc_end1:
	.size	_ZN6thrust23THRUST_200600_302600_NS11hip_rocprim14__parallel_for6kernelILj256ENS1_20__uninitialized_fill7functorINS0_10device_ptrIfEEfEEmLj1EEEvT0_T1_SA_, .Lfunc_end1-_ZN6thrust23THRUST_200600_302600_NS11hip_rocprim14__parallel_for6kernelILj256ENS1_20__uninitialized_fill7functorINS0_10device_ptrIfEEfEEmLj1EEEvT0_T1_SA_
                                        ; -- End function
	.set _ZN6thrust23THRUST_200600_302600_NS11hip_rocprim14__parallel_for6kernelILj256ENS1_20__uninitialized_fill7functorINS0_10device_ptrIfEEfEEmLj1EEEvT0_T1_SA_.num_vgpr, 4
	.set _ZN6thrust23THRUST_200600_302600_NS11hip_rocprim14__parallel_for6kernelILj256ENS1_20__uninitialized_fill7functorINS0_10device_ptrIfEEfEEmLj1EEEvT0_T1_SA_.num_agpr, 0
	.set _ZN6thrust23THRUST_200600_302600_NS11hip_rocprim14__parallel_for6kernelILj256ENS1_20__uninitialized_fill7functorINS0_10device_ptrIfEEfEEmLj1EEEvT0_T1_SA_.numbered_sgpr, 12
	.set _ZN6thrust23THRUST_200600_302600_NS11hip_rocprim14__parallel_for6kernelILj256ENS1_20__uninitialized_fill7functorINS0_10device_ptrIfEEfEEmLj1EEEvT0_T1_SA_.num_named_barrier, 0
	.set _ZN6thrust23THRUST_200600_302600_NS11hip_rocprim14__parallel_for6kernelILj256ENS1_20__uninitialized_fill7functorINS0_10device_ptrIfEEfEEmLj1EEEvT0_T1_SA_.private_seg_size, 0
	.set _ZN6thrust23THRUST_200600_302600_NS11hip_rocprim14__parallel_for6kernelILj256ENS1_20__uninitialized_fill7functorINS0_10device_ptrIfEEfEEmLj1EEEvT0_T1_SA_.uses_vcc, 1
	.set _ZN6thrust23THRUST_200600_302600_NS11hip_rocprim14__parallel_for6kernelILj256ENS1_20__uninitialized_fill7functorINS0_10device_ptrIfEEfEEmLj1EEEvT0_T1_SA_.uses_flat_scratch, 0
	.set _ZN6thrust23THRUST_200600_302600_NS11hip_rocprim14__parallel_for6kernelILj256ENS1_20__uninitialized_fill7functorINS0_10device_ptrIfEEfEEmLj1EEEvT0_T1_SA_.has_dyn_sized_stack, 0
	.set _ZN6thrust23THRUST_200600_302600_NS11hip_rocprim14__parallel_for6kernelILj256ENS1_20__uninitialized_fill7functorINS0_10device_ptrIfEEfEEmLj1EEEvT0_T1_SA_.has_recursion, 0
	.set _ZN6thrust23THRUST_200600_302600_NS11hip_rocprim14__parallel_for6kernelILj256ENS1_20__uninitialized_fill7functorINS0_10device_ptrIfEEfEEmLj1EEEvT0_T1_SA_.has_indirect_call, 0
	.section	.AMDGPU.csdata,"",@progbits
; Kernel info:
; codeLenInByte = 200
; TotalNumSgprs: 14
; NumVgprs: 4
; ScratchSize: 0
; MemoryBound: 0
; FloatMode: 240
; IeeeMode: 1
; LDSByteSize: 0 bytes/workgroup (compile time only)
; SGPRBlocks: 0
; VGPRBlocks: 0
; NumSGPRsForWavesPerEU: 14
; NumVGPRsForWavesPerEU: 4
; Occupancy: 16
; WaveLimiterHint : 0
; COMPUTE_PGM_RSRC2:SCRATCH_EN: 0
; COMPUTE_PGM_RSRC2:USER_SGPR: 6
; COMPUTE_PGM_RSRC2:TRAP_HANDLER: 0
; COMPUTE_PGM_RSRC2:TGID_X_EN: 1
; COMPUTE_PGM_RSRC2:TGID_Y_EN: 0
; COMPUTE_PGM_RSRC2:TGID_Z_EN: 0
; COMPUTE_PGM_RSRC2:TIDIG_COMP_CNT: 0
	.section	.text._ZN7rocprim17ROCPRIM_400000_NS6detail17trampoline_kernelINS0_14default_configENS1_21merge_config_selectorINS0_5tupleIJifEEENS0_10empty_typeEEEZNS1_10merge_implIS3_NS0_12zip_iteratorINS5_IJN6thrust23THRUST_200600_302600_NS6detail15normal_iteratorINSC_10device_ptrIKiEEEENSE_INSF_IKfEEEEEEEEESN_NSA_INS5_IJNSE_INSF_IiEEEENSE_INSF_IfEEEEEEEEEPS7_SU_SU_NSC_11hip_rocprim7__merge17predicate_wrapperIifNSC_4lessIiEEEEEE10hipError_tPvRmT0_T1_T2_T3_T4_T5_mmT6_P12ihipStream_tbEUlT_E_NS1_11comp_targetILNS1_3genE0ELNS1_11target_archE4294967295ELNS1_3gpuE0ELNS1_3repE0EEENS1_30default_config_static_selectorELNS0_4arch9wavefront6targetE0EEEvS15_,"axG",@progbits,_ZN7rocprim17ROCPRIM_400000_NS6detail17trampoline_kernelINS0_14default_configENS1_21merge_config_selectorINS0_5tupleIJifEEENS0_10empty_typeEEEZNS1_10merge_implIS3_NS0_12zip_iteratorINS5_IJN6thrust23THRUST_200600_302600_NS6detail15normal_iteratorINSC_10device_ptrIKiEEEENSE_INSF_IKfEEEEEEEEESN_NSA_INS5_IJNSE_INSF_IiEEEENSE_INSF_IfEEEEEEEEEPS7_SU_SU_NSC_11hip_rocprim7__merge17predicate_wrapperIifNSC_4lessIiEEEEEE10hipError_tPvRmT0_T1_T2_T3_T4_T5_mmT6_P12ihipStream_tbEUlT_E_NS1_11comp_targetILNS1_3genE0ELNS1_11target_archE4294967295ELNS1_3gpuE0ELNS1_3repE0EEENS1_30default_config_static_selectorELNS0_4arch9wavefront6targetE0EEEvS15_,comdat
	.protected	_ZN7rocprim17ROCPRIM_400000_NS6detail17trampoline_kernelINS0_14default_configENS1_21merge_config_selectorINS0_5tupleIJifEEENS0_10empty_typeEEEZNS1_10merge_implIS3_NS0_12zip_iteratorINS5_IJN6thrust23THRUST_200600_302600_NS6detail15normal_iteratorINSC_10device_ptrIKiEEEENSE_INSF_IKfEEEEEEEEESN_NSA_INS5_IJNSE_INSF_IiEEEENSE_INSF_IfEEEEEEEEEPS7_SU_SU_NSC_11hip_rocprim7__merge17predicate_wrapperIifNSC_4lessIiEEEEEE10hipError_tPvRmT0_T1_T2_T3_T4_T5_mmT6_P12ihipStream_tbEUlT_E_NS1_11comp_targetILNS1_3genE0ELNS1_11target_archE4294967295ELNS1_3gpuE0ELNS1_3repE0EEENS1_30default_config_static_selectorELNS0_4arch9wavefront6targetE0EEEvS15_ ; -- Begin function _ZN7rocprim17ROCPRIM_400000_NS6detail17trampoline_kernelINS0_14default_configENS1_21merge_config_selectorINS0_5tupleIJifEEENS0_10empty_typeEEEZNS1_10merge_implIS3_NS0_12zip_iteratorINS5_IJN6thrust23THRUST_200600_302600_NS6detail15normal_iteratorINSC_10device_ptrIKiEEEENSE_INSF_IKfEEEEEEEEESN_NSA_INS5_IJNSE_INSF_IiEEEENSE_INSF_IfEEEEEEEEEPS7_SU_SU_NSC_11hip_rocprim7__merge17predicate_wrapperIifNSC_4lessIiEEEEEE10hipError_tPvRmT0_T1_T2_T3_T4_T5_mmT6_P12ihipStream_tbEUlT_E_NS1_11comp_targetILNS1_3genE0ELNS1_11target_archE4294967295ELNS1_3gpuE0ELNS1_3repE0EEENS1_30default_config_static_selectorELNS0_4arch9wavefront6targetE0EEEvS15_
	.globl	_ZN7rocprim17ROCPRIM_400000_NS6detail17trampoline_kernelINS0_14default_configENS1_21merge_config_selectorINS0_5tupleIJifEEENS0_10empty_typeEEEZNS1_10merge_implIS3_NS0_12zip_iteratorINS5_IJN6thrust23THRUST_200600_302600_NS6detail15normal_iteratorINSC_10device_ptrIKiEEEENSE_INSF_IKfEEEEEEEEESN_NSA_INS5_IJNSE_INSF_IiEEEENSE_INSF_IfEEEEEEEEEPS7_SU_SU_NSC_11hip_rocprim7__merge17predicate_wrapperIifNSC_4lessIiEEEEEE10hipError_tPvRmT0_T1_T2_T3_T4_T5_mmT6_P12ihipStream_tbEUlT_E_NS1_11comp_targetILNS1_3genE0ELNS1_11target_archE4294967295ELNS1_3gpuE0ELNS1_3repE0EEENS1_30default_config_static_selectorELNS0_4arch9wavefront6targetE0EEEvS15_
	.p2align	8
	.type	_ZN7rocprim17ROCPRIM_400000_NS6detail17trampoline_kernelINS0_14default_configENS1_21merge_config_selectorINS0_5tupleIJifEEENS0_10empty_typeEEEZNS1_10merge_implIS3_NS0_12zip_iteratorINS5_IJN6thrust23THRUST_200600_302600_NS6detail15normal_iteratorINSC_10device_ptrIKiEEEENSE_INSF_IKfEEEEEEEEESN_NSA_INS5_IJNSE_INSF_IiEEEENSE_INSF_IfEEEEEEEEEPS7_SU_SU_NSC_11hip_rocprim7__merge17predicate_wrapperIifNSC_4lessIiEEEEEE10hipError_tPvRmT0_T1_T2_T3_T4_T5_mmT6_P12ihipStream_tbEUlT_E_NS1_11comp_targetILNS1_3genE0ELNS1_11target_archE4294967295ELNS1_3gpuE0ELNS1_3repE0EEENS1_30default_config_static_selectorELNS0_4arch9wavefront6targetE0EEEvS15_,@function
_ZN7rocprim17ROCPRIM_400000_NS6detail17trampoline_kernelINS0_14default_configENS1_21merge_config_selectorINS0_5tupleIJifEEENS0_10empty_typeEEEZNS1_10merge_implIS3_NS0_12zip_iteratorINS5_IJN6thrust23THRUST_200600_302600_NS6detail15normal_iteratorINSC_10device_ptrIKiEEEENSE_INSF_IKfEEEEEEEEESN_NSA_INS5_IJNSE_INSF_IiEEEENSE_INSF_IfEEEEEEEEEPS7_SU_SU_NSC_11hip_rocprim7__merge17predicate_wrapperIifNSC_4lessIiEEEEEE10hipError_tPvRmT0_T1_T2_T3_T4_T5_mmT6_P12ihipStream_tbEUlT_E_NS1_11comp_targetILNS1_3genE0ELNS1_11target_archE4294967295ELNS1_3gpuE0ELNS1_3repE0EEENS1_30default_config_static_selectorELNS0_4arch9wavefront6targetE0EEEvS15_: ; @_ZN7rocprim17ROCPRIM_400000_NS6detail17trampoline_kernelINS0_14default_configENS1_21merge_config_selectorINS0_5tupleIJifEEENS0_10empty_typeEEEZNS1_10merge_implIS3_NS0_12zip_iteratorINS5_IJN6thrust23THRUST_200600_302600_NS6detail15normal_iteratorINSC_10device_ptrIKiEEEENSE_INSF_IKfEEEEEEEEESN_NSA_INS5_IJNSE_INSF_IiEEEENSE_INSF_IfEEEEEEEEEPS7_SU_SU_NSC_11hip_rocprim7__merge17predicate_wrapperIifNSC_4lessIiEEEEEE10hipError_tPvRmT0_T1_T2_T3_T4_T5_mmT6_P12ihipStream_tbEUlT_E_NS1_11comp_targetILNS1_3genE0ELNS1_11target_archE4294967295ELNS1_3gpuE0ELNS1_3repE0EEENS1_30default_config_static_selectorELNS0_4arch9wavefront6targetE0EEEvS15_
; %bb.0:
	.section	.rodata,"a",@progbits
	.p2align	6, 0x0
	.amdhsa_kernel _ZN7rocprim17ROCPRIM_400000_NS6detail17trampoline_kernelINS0_14default_configENS1_21merge_config_selectorINS0_5tupleIJifEEENS0_10empty_typeEEEZNS1_10merge_implIS3_NS0_12zip_iteratorINS5_IJN6thrust23THRUST_200600_302600_NS6detail15normal_iteratorINSC_10device_ptrIKiEEEENSE_INSF_IKfEEEEEEEEESN_NSA_INS5_IJNSE_INSF_IiEEEENSE_INSF_IfEEEEEEEEEPS7_SU_SU_NSC_11hip_rocprim7__merge17predicate_wrapperIifNSC_4lessIiEEEEEE10hipError_tPvRmT0_T1_T2_T3_T4_T5_mmT6_P12ihipStream_tbEUlT_E_NS1_11comp_targetILNS1_3genE0ELNS1_11target_archE4294967295ELNS1_3gpuE0ELNS1_3repE0EEENS1_30default_config_static_selectorELNS0_4arch9wavefront6targetE0EEEvS15_
		.amdhsa_group_segment_fixed_size 0
		.amdhsa_private_segment_fixed_size 0
		.amdhsa_kernarg_size 64
		.amdhsa_user_sgpr_count 6
		.amdhsa_user_sgpr_private_segment_buffer 1
		.amdhsa_user_sgpr_dispatch_ptr 0
		.amdhsa_user_sgpr_queue_ptr 0
		.amdhsa_user_sgpr_kernarg_segment_ptr 1
		.amdhsa_user_sgpr_dispatch_id 0
		.amdhsa_user_sgpr_flat_scratch_init 0
		.amdhsa_user_sgpr_private_segment_size 0
		.amdhsa_wavefront_size32 1
		.amdhsa_uses_dynamic_stack 0
		.amdhsa_system_sgpr_private_segment_wavefront_offset 0
		.amdhsa_system_sgpr_workgroup_id_x 1
		.amdhsa_system_sgpr_workgroup_id_y 0
		.amdhsa_system_sgpr_workgroup_id_z 0
		.amdhsa_system_sgpr_workgroup_info 0
		.amdhsa_system_vgpr_workitem_id 0
		.amdhsa_next_free_vgpr 1
		.amdhsa_next_free_sgpr 1
		.amdhsa_reserve_vcc 0
		.amdhsa_reserve_flat_scratch 0
		.amdhsa_float_round_mode_32 0
		.amdhsa_float_round_mode_16_64 0
		.amdhsa_float_denorm_mode_32 3
		.amdhsa_float_denorm_mode_16_64 3
		.amdhsa_dx10_clamp 1
		.amdhsa_ieee_mode 1
		.amdhsa_fp16_overflow 0
		.amdhsa_workgroup_processor_mode 1
		.amdhsa_memory_ordered 1
		.amdhsa_forward_progress 1
		.amdhsa_shared_vgpr_count 0
		.amdhsa_exception_fp_ieee_invalid_op 0
		.amdhsa_exception_fp_denorm_src 0
		.amdhsa_exception_fp_ieee_div_zero 0
		.amdhsa_exception_fp_ieee_overflow 0
		.amdhsa_exception_fp_ieee_underflow 0
		.amdhsa_exception_fp_ieee_inexact 0
		.amdhsa_exception_int_div_zero 0
	.end_amdhsa_kernel
	.section	.text._ZN7rocprim17ROCPRIM_400000_NS6detail17trampoline_kernelINS0_14default_configENS1_21merge_config_selectorINS0_5tupleIJifEEENS0_10empty_typeEEEZNS1_10merge_implIS3_NS0_12zip_iteratorINS5_IJN6thrust23THRUST_200600_302600_NS6detail15normal_iteratorINSC_10device_ptrIKiEEEENSE_INSF_IKfEEEEEEEEESN_NSA_INS5_IJNSE_INSF_IiEEEENSE_INSF_IfEEEEEEEEEPS7_SU_SU_NSC_11hip_rocprim7__merge17predicate_wrapperIifNSC_4lessIiEEEEEE10hipError_tPvRmT0_T1_T2_T3_T4_T5_mmT6_P12ihipStream_tbEUlT_E_NS1_11comp_targetILNS1_3genE0ELNS1_11target_archE4294967295ELNS1_3gpuE0ELNS1_3repE0EEENS1_30default_config_static_selectorELNS0_4arch9wavefront6targetE0EEEvS15_,"axG",@progbits,_ZN7rocprim17ROCPRIM_400000_NS6detail17trampoline_kernelINS0_14default_configENS1_21merge_config_selectorINS0_5tupleIJifEEENS0_10empty_typeEEEZNS1_10merge_implIS3_NS0_12zip_iteratorINS5_IJN6thrust23THRUST_200600_302600_NS6detail15normal_iteratorINSC_10device_ptrIKiEEEENSE_INSF_IKfEEEEEEEEESN_NSA_INS5_IJNSE_INSF_IiEEEENSE_INSF_IfEEEEEEEEEPS7_SU_SU_NSC_11hip_rocprim7__merge17predicate_wrapperIifNSC_4lessIiEEEEEE10hipError_tPvRmT0_T1_T2_T3_T4_T5_mmT6_P12ihipStream_tbEUlT_E_NS1_11comp_targetILNS1_3genE0ELNS1_11target_archE4294967295ELNS1_3gpuE0ELNS1_3repE0EEENS1_30default_config_static_selectorELNS0_4arch9wavefront6targetE0EEEvS15_,comdat
.Lfunc_end2:
	.size	_ZN7rocprim17ROCPRIM_400000_NS6detail17trampoline_kernelINS0_14default_configENS1_21merge_config_selectorINS0_5tupleIJifEEENS0_10empty_typeEEEZNS1_10merge_implIS3_NS0_12zip_iteratorINS5_IJN6thrust23THRUST_200600_302600_NS6detail15normal_iteratorINSC_10device_ptrIKiEEEENSE_INSF_IKfEEEEEEEEESN_NSA_INS5_IJNSE_INSF_IiEEEENSE_INSF_IfEEEEEEEEEPS7_SU_SU_NSC_11hip_rocprim7__merge17predicate_wrapperIifNSC_4lessIiEEEEEE10hipError_tPvRmT0_T1_T2_T3_T4_T5_mmT6_P12ihipStream_tbEUlT_E_NS1_11comp_targetILNS1_3genE0ELNS1_11target_archE4294967295ELNS1_3gpuE0ELNS1_3repE0EEENS1_30default_config_static_selectorELNS0_4arch9wavefront6targetE0EEEvS15_, .Lfunc_end2-_ZN7rocprim17ROCPRIM_400000_NS6detail17trampoline_kernelINS0_14default_configENS1_21merge_config_selectorINS0_5tupleIJifEEENS0_10empty_typeEEEZNS1_10merge_implIS3_NS0_12zip_iteratorINS5_IJN6thrust23THRUST_200600_302600_NS6detail15normal_iteratorINSC_10device_ptrIKiEEEENSE_INSF_IKfEEEEEEEEESN_NSA_INS5_IJNSE_INSF_IiEEEENSE_INSF_IfEEEEEEEEEPS7_SU_SU_NSC_11hip_rocprim7__merge17predicate_wrapperIifNSC_4lessIiEEEEEE10hipError_tPvRmT0_T1_T2_T3_T4_T5_mmT6_P12ihipStream_tbEUlT_E_NS1_11comp_targetILNS1_3genE0ELNS1_11target_archE4294967295ELNS1_3gpuE0ELNS1_3repE0EEENS1_30default_config_static_selectorELNS0_4arch9wavefront6targetE0EEEvS15_
                                        ; -- End function
	.set _ZN7rocprim17ROCPRIM_400000_NS6detail17trampoline_kernelINS0_14default_configENS1_21merge_config_selectorINS0_5tupleIJifEEENS0_10empty_typeEEEZNS1_10merge_implIS3_NS0_12zip_iteratorINS5_IJN6thrust23THRUST_200600_302600_NS6detail15normal_iteratorINSC_10device_ptrIKiEEEENSE_INSF_IKfEEEEEEEEESN_NSA_INS5_IJNSE_INSF_IiEEEENSE_INSF_IfEEEEEEEEEPS7_SU_SU_NSC_11hip_rocprim7__merge17predicate_wrapperIifNSC_4lessIiEEEEEE10hipError_tPvRmT0_T1_T2_T3_T4_T5_mmT6_P12ihipStream_tbEUlT_E_NS1_11comp_targetILNS1_3genE0ELNS1_11target_archE4294967295ELNS1_3gpuE0ELNS1_3repE0EEENS1_30default_config_static_selectorELNS0_4arch9wavefront6targetE0EEEvS15_.num_vgpr, 0
	.set _ZN7rocprim17ROCPRIM_400000_NS6detail17trampoline_kernelINS0_14default_configENS1_21merge_config_selectorINS0_5tupleIJifEEENS0_10empty_typeEEEZNS1_10merge_implIS3_NS0_12zip_iteratorINS5_IJN6thrust23THRUST_200600_302600_NS6detail15normal_iteratorINSC_10device_ptrIKiEEEENSE_INSF_IKfEEEEEEEEESN_NSA_INS5_IJNSE_INSF_IiEEEENSE_INSF_IfEEEEEEEEEPS7_SU_SU_NSC_11hip_rocprim7__merge17predicate_wrapperIifNSC_4lessIiEEEEEE10hipError_tPvRmT0_T1_T2_T3_T4_T5_mmT6_P12ihipStream_tbEUlT_E_NS1_11comp_targetILNS1_3genE0ELNS1_11target_archE4294967295ELNS1_3gpuE0ELNS1_3repE0EEENS1_30default_config_static_selectorELNS0_4arch9wavefront6targetE0EEEvS15_.num_agpr, 0
	.set _ZN7rocprim17ROCPRIM_400000_NS6detail17trampoline_kernelINS0_14default_configENS1_21merge_config_selectorINS0_5tupleIJifEEENS0_10empty_typeEEEZNS1_10merge_implIS3_NS0_12zip_iteratorINS5_IJN6thrust23THRUST_200600_302600_NS6detail15normal_iteratorINSC_10device_ptrIKiEEEENSE_INSF_IKfEEEEEEEEESN_NSA_INS5_IJNSE_INSF_IiEEEENSE_INSF_IfEEEEEEEEEPS7_SU_SU_NSC_11hip_rocprim7__merge17predicate_wrapperIifNSC_4lessIiEEEEEE10hipError_tPvRmT0_T1_T2_T3_T4_T5_mmT6_P12ihipStream_tbEUlT_E_NS1_11comp_targetILNS1_3genE0ELNS1_11target_archE4294967295ELNS1_3gpuE0ELNS1_3repE0EEENS1_30default_config_static_selectorELNS0_4arch9wavefront6targetE0EEEvS15_.numbered_sgpr, 0
	.set _ZN7rocprim17ROCPRIM_400000_NS6detail17trampoline_kernelINS0_14default_configENS1_21merge_config_selectorINS0_5tupleIJifEEENS0_10empty_typeEEEZNS1_10merge_implIS3_NS0_12zip_iteratorINS5_IJN6thrust23THRUST_200600_302600_NS6detail15normal_iteratorINSC_10device_ptrIKiEEEENSE_INSF_IKfEEEEEEEEESN_NSA_INS5_IJNSE_INSF_IiEEEENSE_INSF_IfEEEEEEEEEPS7_SU_SU_NSC_11hip_rocprim7__merge17predicate_wrapperIifNSC_4lessIiEEEEEE10hipError_tPvRmT0_T1_T2_T3_T4_T5_mmT6_P12ihipStream_tbEUlT_E_NS1_11comp_targetILNS1_3genE0ELNS1_11target_archE4294967295ELNS1_3gpuE0ELNS1_3repE0EEENS1_30default_config_static_selectorELNS0_4arch9wavefront6targetE0EEEvS15_.num_named_barrier, 0
	.set _ZN7rocprim17ROCPRIM_400000_NS6detail17trampoline_kernelINS0_14default_configENS1_21merge_config_selectorINS0_5tupleIJifEEENS0_10empty_typeEEEZNS1_10merge_implIS3_NS0_12zip_iteratorINS5_IJN6thrust23THRUST_200600_302600_NS6detail15normal_iteratorINSC_10device_ptrIKiEEEENSE_INSF_IKfEEEEEEEEESN_NSA_INS5_IJNSE_INSF_IiEEEENSE_INSF_IfEEEEEEEEEPS7_SU_SU_NSC_11hip_rocprim7__merge17predicate_wrapperIifNSC_4lessIiEEEEEE10hipError_tPvRmT0_T1_T2_T3_T4_T5_mmT6_P12ihipStream_tbEUlT_E_NS1_11comp_targetILNS1_3genE0ELNS1_11target_archE4294967295ELNS1_3gpuE0ELNS1_3repE0EEENS1_30default_config_static_selectorELNS0_4arch9wavefront6targetE0EEEvS15_.private_seg_size, 0
	.set _ZN7rocprim17ROCPRIM_400000_NS6detail17trampoline_kernelINS0_14default_configENS1_21merge_config_selectorINS0_5tupleIJifEEENS0_10empty_typeEEEZNS1_10merge_implIS3_NS0_12zip_iteratorINS5_IJN6thrust23THRUST_200600_302600_NS6detail15normal_iteratorINSC_10device_ptrIKiEEEENSE_INSF_IKfEEEEEEEEESN_NSA_INS5_IJNSE_INSF_IiEEEENSE_INSF_IfEEEEEEEEEPS7_SU_SU_NSC_11hip_rocprim7__merge17predicate_wrapperIifNSC_4lessIiEEEEEE10hipError_tPvRmT0_T1_T2_T3_T4_T5_mmT6_P12ihipStream_tbEUlT_E_NS1_11comp_targetILNS1_3genE0ELNS1_11target_archE4294967295ELNS1_3gpuE0ELNS1_3repE0EEENS1_30default_config_static_selectorELNS0_4arch9wavefront6targetE0EEEvS15_.uses_vcc, 0
	.set _ZN7rocprim17ROCPRIM_400000_NS6detail17trampoline_kernelINS0_14default_configENS1_21merge_config_selectorINS0_5tupleIJifEEENS0_10empty_typeEEEZNS1_10merge_implIS3_NS0_12zip_iteratorINS5_IJN6thrust23THRUST_200600_302600_NS6detail15normal_iteratorINSC_10device_ptrIKiEEEENSE_INSF_IKfEEEEEEEEESN_NSA_INS5_IJNSE_INSF_IiEEEENSE_INSF_IfEEEEEEEEEPS7_SU_SU_NSC_11hip_rocprim7__merge17predicate_wrapperIifNSC_4lessIiEEEEEE10hipError_tPvRmT0_T1_T2_T3_T4_T5_mmT6_P12ihipStream_tbEUlT_E_NS1_11comp_targetILNS1_3genE0ELNS1_11target_archE4294967295ELNS1_3gpuE0ELNS1_3repE0EEENS1_30default_config_static_selectorELNS0_4arch9wavefront6targetE0EEEvS15_.uses_flat_scratch, 0
	.set _ZN7rocprim17ROCPRIM_400000_NS6detail17trampoline_kernelINS0_14default_configENS1_21merge_config_selectorINS0_5tupleIJifEEENS0_10empty_typeEEEZNS1_10merge_implIS3_NS0_12zip_iteratorINS5_IJN6thrust23THRUST_200600_302600_NS6detail15normal_iteratorINSC_10device_ptrIKiEEEENSE_INSF_IKfEEEEEEEEESN_NSA_INS5_IJNSE_INSF_IiEEEENSE_INSF_IfEEEEEEEEEPS7_SU_SU_NSC_11hip_rocprim7__merge17predicate_wrapperIifNSC_4lessIiEEEEEE10hipError_tPvRmT0_T1_T2_T3_T4_T5_mmT6_P12ihipStream_tbEUlT_E_NS1_11comp_targetILNS1_3genE0ELNS1_11target_archE4294967295ELNS1_3gpuE0ELNS1_3repE0EEENS1_30default_config_static_selectorELNS0_4arch9wavefront6targetE0EEEvS15_.has_dyn_sized_stack, 0
	.set _ZN7rocprim17ROCPRIM_400000_NS6detail17trampoline_kernelINS0_14default_configENS1_21merge_config_selectorINS0_5tupleIJifEEENS0_10empty_typeEEEZNS1_10merge_implIS3_NS0_12zip_iteratorINS5_IJN6thrust23THRUST_200600_302600_NS6detail15normal_iteratorINSC_10device_ptrIKiEEEENSE_INSF_IKfEEEEEEEEESN_NSA_INS5_IJNSE_INSF_IiEEEENSE_INSF_IfEEEEEEEEEPS7_SU_SU_NSC_11hip_rocprim7__merge17predicate_wrapperIifNSC_4lessIiEEEEEE10hipError_tPvRmT0_T1_T2_T3_T4_T5_mmT6_P12ihipStream_tbEUlT_E_NS1_11comp_targetILNS1_3genE0ELNS1_11target_archE4294967295ELNS1_3gpuE0ELNS1_3repE0EEENS1_30default_config_static_selectorELNS0_4arch9wavefront6targetE0EEEvS15_.has_recursion, 0
	.set _ZN7rocprim17ROCPRIM_400000_NS6detail17trampoline_kernelINS0_14default_configENS1_21merge_config_selectorINS0_5tupleIJifEEENS0_10empty_typeEEEZNS1_10merge_implIS3_NS0_12zip_iteratorINS5_IJN6thrust23THRUST_200600_302600_NS6detail15normal_iteratorINSC_10device_ptrIKiEEEENSE_INSF_IKfEEEEEEEEESN_NSA_INS5_IJNSE_INSF_IiEEEENSE_INSF_IfEEEEEEEEEPS7_SU_SU_NSC_11hip_rocprim7__merge17predicate_wrapperIifNSC_4lessIiEEEEEE10hipError_tPvRmT0_T1_T2_T3_T4_T5_mmT6_P12ihipStream_tbEUlT_E_NS1_11comp_targetILNS1_3genE0ELNS1_11target_archE4294967295ELNS1_3gpuE0ELNS1_3repE0EEENS1_30default_config_static_selectorELNS0_4arch9wavefront6targetE0EEEvS15_.has_indirect_call, 0
	.section	.AMDGPU.csdata,"",@progbits
; Kernel info:
; codeLenInByte = 0
; TotalNumSgprs: 0
; NumVgprs: 0
; ScratchSize: 0
; MemoryBound: 0
; FloatMode: 240
; IeeeMode: 1
; LDSByteSize: 0 bytes/workgroup (compile time only)
; SGPRBlocks: 0
; VGPRBlocks: 0
; NumSGPRsForWavesPerEU: 1
; NumVGPRsForWavesPerEU: 1
; Occupancy: 16
; WaveLimiterHint : 0
; COMPUTE_PGM_RSRC2:SCRATCH_EN: 0
; COMPUTE_PGM_RSRC2:USER_SGPR: 6
; COMPUTE_PGM_RSRC2:TRAP_HANDLER: 0
; COMPUTE_PGM_RSRC2:TGID_X_EN: 1
; COMPUTE_PGM_RSRC2:TGID_Y_EN: 0
; COMPUTE_PGM_RSRC2:TGID_Z_EN: 0
; COMPUTE_PGM_RSRC2:TIDIG_COMP_CNT: 0
	.section	.text._ZN7rocprim17ROCPRIM_400000_NS6detail17trampoline_kernelINS0_14default_configENS1_21merge_config_selectorINS0_5tupleIJifEEENS0_10empty_typeEEEZNS1_10merge_implIS3_NS0_12zip_iteratorINS5_IJN6thrust23THRUST_200600_302600_NS6detail15normal_iteratorINSC_10device_ptrIKiEEEENSE_INSF_IKfEEEEEEEEESN_NSA_INS5_IJNSE_INSF_IiEEEENSE_INSF_IfEEEEEEEEEPS7_SU_SU_NSC_11hip_rocprim7__merge17predicate_wrapperIifNSC_4lessIiEEEEEE10hipError_tPvRmT0_T1_T2_T3_T4_T5_mmT6_P12ihipStream_tbEUlT_E_NS1_11comp_targetILNS1_3genE5ELNS1_11target_archE942ELNS1_3gpuE9ELNS1_3repE0EEENS1_30default_config_static_selectorELNS0_4arch9wavefront6targetE0EEEvS15_,"axG",@progbits,_ZN7rocprim17ROCPRIM_400000_NS6detail17trampoline_kernelINS0_14default_configENS1_21merge_config_selectorINS0_5tupleIJifEEENS0_10empty_typeEEEZNS1_10merge_implIS3_NS0_12zip_iteratorINS5_IJN6thrust23THRUST_200600_302600_NS6detail15normal_iteratorINSC_10device_ptrIKiEEEENSE_INSF_IKfEEEEEEEEESN_NSA_INS5_IJNSE_INSF_IiEEEENSE_INSF_IfEEEEEEEEEPS7_SU_SU_NSC_11hip_rocprim7__merge17predicate_wrapperIifNSC_4lessIiEEEEEE10hipError_tPvRmT0_T1_T2_T3_T4_T5_mmT6_P12ihipStream_tbEUlT_E_NS1_11comp_targetILNS1_3genE5ELNS1_11target_archE942ELNS1_3gpuE9ELNS1_3repE0EEENS1_30default_config_static_selectorELNS0_4arch9wavefront6targetE0EEEvS15_,comdat
	.protected	_ZN7rocprim17ROCPRIM_400000_NS6detail17trampoline_kernelINS0_14default_configENS1_21merge_config_selectorINS0_5tupleIJifEEENS0_10empty_typeEEEZNS1_10merge_implIS3_NS0_12zip_iteratorINS5_IJN6thrust23THRUST_200600_302600_NS6detail15normal_iteratorINSC_10device_ptrIKiEEEENSE_INSF_IKfEEEEEEEEESN_NSA_INS5_IJNSE_INSF_IiEEEENSE_INSF_IfEEEEEEEEEPS7_SU_SU_NSC_11hip_rocprim7__merge17predicate_wrapperIifNSC_4lessIiEEEEEE10hipError_tPvRmT0_T1_T2_T3_T4_T5_mmT6_P12ihipStream_tbEUlT_E_NS1_11comp_targetILNS1_3genE5ELNS1_11target_archE942ELNS1_3gpuE9ELNS1_3repE0EEENS1_30default_config_static_selectorELNS0_4arch9wavefront6targetE0EEEvS15_ ; -- Begin function _ZN7rocprim17ROCPRIM_400000_NS6detail17trampoline_kernelINS0_14default_configENS1_21merge_config_selectorINS0_5tupleIJifEEENS0_10empty_typeEEEZNS1_10merge_implIS3_NS0_12zip_iteratorINS5_IJN6thrust23THRUST_200600_302600_NS6detail15normal_iteratorINSC_10device_ptrIKiEEEENSE_INSF_IKfEEEEEEEEESN_NSA_INS5_IJNSE_INSF_IiEEEENSE_INSF_IfEEEEEEEEEPS7_SU_SU_NSC_11hip_rocprim7__merge17predicate_wrapperIifNSC_4lessIiEEEEEE10hipError_tPvRmT0_T1_T2_T3_T4_T5_mmT6_P12ihipStream_tbEUlT_E_NS1_11comp_targetILNS1_3genE5ELNS1_11target_archE942ELNS1_3gpuE9ELNS1_3repE0EEENS1_30default_config_static_selectorELNS0_4arch9wavefront6targetE0EEEvS15_
	.globl	_ZN7rocprim17ROCPRIM_400000_NS6detail17trampoline_kernelINS0_14default_configENS1_21merge_config_selectorINS0_5tupleIJifEEENS0_10empty_typeEEEZNS1_10merge_implIS3_NS0_12zip_iteratorINS5_IJN6thrust23THRUST_200600_302600_NS6detail15normal_iteratorINSC_10device_ptrIKiEEEENSE_INSF_IKfEEEEEEEEESN_NSA_INS5_IJNSE_INSF_IiEEEENSE_INSF_IfEEEEEEEEEPS7_SU_SU_NSC_11hip_rocprim7__merge17predicate_wrapperIifNSC_4lessIiEEEEEE10hipError_tPvRmT0_T1_T2_T3_T4_T5_mmT6_P12ihipStream_tbEUlT_E_NS1_11comp_targetILNS1_3genE5ELNS1_11target_archE942ELNS1_3gpuE9ELNS1_3repE0EEENS1_30default_config_static_selectorELNS0_4arch9wavefront6targetE0EEEvS15_
	.p2align	8
	.type	_ZN7rocprim17ROCPRIM_400000_NS6detail17trampoline_kernelINS0_14default_configENS1_21merge_config_selectorINS0_5tupleIJifEEENS0_10empty_typeEEEZNS1_10merge_implIS3_NS0_12zip_iteratorINS5_IJN6thrust23THRUST_200600_302600_NS6detail15normal_iteratorINSC_10device_ptrIKiEEEENSE_INSF_IKfEEEEEEEEESN_NSA_INS5_IJNSE_INSF_IiEEEENSE_INSF_IfEEEEEEEEEPS7_SU_SU_NSC_11hip_rocprim7__merge17predicate_wrapperIifNSC_4lessIiEEEEEE10hipError_tPvRmT0_T1_T2_T3_T4_T5_mmT6_P12ihipStream_tbEUlT_E_NS1_11comp_targetILNS1_3genE5ELNS1_11target_archE942ELNS1_3gpuE9ELNS1_3repE0EEENS1_30default_config_static_selectorELNS0_4arch9wavefront6targetE0EEEvS15_,@function
_ZN7rocprim17ROCPRIM_400000_NS6detail17trampoline_kernelINS0_14default_configENS1_21merge_config_selectorINS0_5tupleIJifEEENS0_10empty_typeEEEZNS1_10merge_implIS3_NS0_12zip_iteratorINS5_IJN6thrust23THRUST_200600_302600_NS6detail15normal_iteratorINSC_10device_ptrIKiEEEENSE_INSF_IKfEEEEEEEEESN_NSA_INS5_IJNSE_INSF_IiEEEENSE_INSF_IfEEEEEEEEEPS7_SU_SU_NSC_11hip_rocprim7__merge17predicate_wrapperIifNSC_4lessIiEEEEEE10hipError_tPvRmT0_T1_T2_T3_T4_T5_mmT6_P12ihipStream_tbEUlT_E_NS1_11comp_targetILNS1_3genE5ELNS1_11target_archE942ELNS1_3gpuE9ELNS1_3repE0EEENS1_30default_config_static_selectorELNS0_4arch9wavefront6targetE0EEEvS15_: ; @_ZN7rocprim17ROCPRIM_400000_NS6detail17trampoline_kernelINS0_14default_configENS1_21merge_config_selectorINS0_5tupleIJifEEENS0_10empty_typeEEEZNS1_10merge_implIS3_NS0_12zip_iteratorINS5_IJN6thrust23THRUST_200600_302600_NS6detail15normal_iteratorINSC_10device_ptrIKiEEEENSE_INSF_IKfEEEEEEEEESN_NSA_INS5_IJNSE_INSF_IiEEEENSE_INSF_IfEEEEEEEEEPS7_SU_SU_NSC_11hip_rocprim7__merge17predicate_wrapperIifNSC_4lessIiEEEEEE10hipError_tPvRmT0_T1_T2_T3_T4_T5_mmT6_P12ihipStream_tbEUlT_E_NS1_11comp_targetILNS1_3genE5ELNS1_11target_archE942ELNS1_3gpuE9ELNS1_3repE0EEENS1_30default_config_static_selectorELNS0_4arch9wavefront6targetE0EEEvS15_
; %bb.0:
	.section	.rodata,"a",@progbits
	.p2align	6, 0x0
	.amdhsa_kernel _ZN7rocprim17ROCPRIM_400000_NS6detail17trampoline_kernelINS0_14default_configENS1_21merge_config_selectorINS0_5tupleIJifEEENS0_10empty_typeEEEZNS1_10merge_implIS3_NS0_12zip_iteratorINS5_IJN6thrust23THRUST_200600_302600_NS6detail15normal_iteratorINSC_10device_ptrIKiEEEENSE_INSF_IKfEEEEEEEEESN_NSA_INS5_IJNSE_INSF_IiEEEENSE_INSF_IfEEEEEEEEEPS7_SU_SU_NSC_11hip_rocprim7__merge17predicate_wrapperIifNSC_4lessIiEEEEEE10hipError_tPvRmT0_T1_T2_T3_T4_T5_mmT6_P12ihipStream_tbEUlT_E_NS1_11comp_targetILNS1_3genE5ELNS1_11target_archE942ELNS1_3gpuE9ELNS1_3repE0EEENS1_30default_config_static_selectorELNS0_4arch9wavefront6targetE0EEEvS15_
		.amdhsa_group_segment_fixed_size 0
		.amdhsa_private_segment_fixed_size 0
		.amdhsa_kernarg_size 64
		.amdhsa_user_sgpr_count 6
		.amdhsa_user_sgpr_private_segment_buffer 1
		.amdhsa_user_sgpr_dispatch_ptr 0
		.amdhsa_user_sgpr_queue_ptr 0
		.amdhsa_user_sgpr_kernarg_segment_ptr 1
		.amdhsa_user_sgpr_dispatch_id 0
		.amdhsa_user_sgpr_flat_scratch_init 0
		.amdhsa_user_sgpr_private_segment_size 0
		.amdhsa_wavefront_size32 1
		.amdhsa_uses_dynamic_stack 0
		.amdhsa_system_sgpr_private_segment_wavefront_offset 0
		.amdhsa_system_sgpr_workgroup_id_x 1
		.amdhsa_system_sgpr_workgroup_id_y 0
		.amdhsa_system_sgpr_workgroup_id_z 0
		.amdhsa_system_sgpr_workgroup_info 0
		.amdhsa_system_vgpr_workitem_id 0
		.amdhsa_next_free_vgpr 1
		.amdhsa_next_free_sgpr 1
		.amdhsa_reserve_vcc 0
		.amdhsa_reserve_flat_scratch 0
		.amdhsa_float_round_mode_32 0
		.amdhsa_float_round_mode_16_64 0
		.amdhsa_float_denorm_mode_32 3
		.amdhsa_float_denorm_mode_16_64 3
		.amdhsa_dx10_clamp 1
		.amdhsa_ieee_mode 1
		.amdhsa_fp16_overflow 0
		.amdhsa_workgroup_processor_mode 1
		.amdhsa_memory_ordered 1
		.amdhsa_forward_progress 1
		.amdhsa_shared_vgpr_count 0
		.amdhsa_exception_fp_ieee_invalid_op 0
		.amdhsa_exception_fp_denorm_src 0
		.amdhsa_exception_fp_ieee_div_zero 0
		.amdhsa_exception_fp_ieee_overflow 0
		.amdhsa_exception_fp_ieee_underflow 0
		.amdhsa_exception_fp_ieee_inexact 0
		.amdhsa_exception_int_div_zero 0
	.end_amdhsa_kernel
	.section	.text._ZN7rocprim17ROCPRIM_400000_NS6detail17trampoline_kernelINS0_14default_configENS1_21merge_config_selectorINS0_5tupleIJifEEENS0_10empty_typeEEEZNS1_10merge_implIS3_NS0_12zip_iteratorINS5_IJN6thrust23THRUST_200600_302600_NS6detail15normal_iteratorINSC_10device_ptrIKiEEEENSE_INSF_IKfEEEEEEEEESN_NSA_INS5_IJNSE_INSF_IiEEEENSE_INSF_IfEEEEEEEEEPS7_SU_SU_NSC_11hip_rocprim7__merge17predicate_wrapperIifNSC_4lessIiEEEEEE10hipError_tPvRmT0_T1_T2_T3_T4_T5_mmT6_P12ihipStream_tbEUlT_E_NS1_11comp_targetILNS1_3genE5ELNS1_11target_archE942ELNS1_3gpuE9ELNS1_3repE0EEENS1_30default_config_static_selectorELNS0_4arch9wavefront6targetE0EEEvS15_,"axG",@progbits,_ZN7rocprim17ROCPRIM_400000_NS6detail17trampoline_kernelINS0_14default_configENS1_21merge_config_selectorINS0_5tupleIJifEEENS0_10empty_typeEEEZNS1_10merge_implIS3_NS0_12zip_iteratorINS5_IJN6thrust23THRUST_200600_302600_NS6detail15normal_iteratorINSC_10device_ptrIKiEEEENSE_INSF_IKfEEEEEEEEESN_NSA_INS5_IJNSE_INSF_IiEEEENSE_INSF_IfEEEEEEEEEPS7_SU_SU_NSC_11hip_rocprim7__merge17predicate_wrapperIifNSC_4lessIiEEEEEE10hipError_tPvRmT0_T1_T2_T3_T4_T5_mmT6_P12ihipStream_tbEUlT_E_NS1_11comp_targetILNS1_3genE5ELNS1_11target_archE942ELNS1_3gpuE9ELNS1_3repE0EEENS1_30default_config_static_selectorELNS0_4arch9wavefront6targetE0EEEvS15_,comdat
.Lfunc_end3:
	.size	_ZN7rocprim17ROCPRIM_400000_NS6detail17trampoline_kernelINS0_14default_configENS1_21merge_config_selectorINS0_5tupleIJifEEENS0_10empty_typeEEEZNS1_10merge_implIS3_NS0_12zip_iteratorINS5_IJN6thrust23THRUST_200600_302600_NS6detail15normal_iteratorINSC_10device_ptrIKiEEEENSE_INSF_IKfEEEEEEEEESN_NSA_INS5_IJNSE_INSF_IiEEEENSE_INSF_IfEEEEEEEEEPS7_SU_SU_NSC_11hip_rocprim7__merge17predicate_wrapperIifNSC_4lessIiEEEEEE10hipError_tPvRmT0_T1_T2_T3_T4_T5_mmT6_P12ihipStream_tbEUlT_E_NS1_11comp_targetILNS1_3genE5ELNS1_11target_archE942ELNS1_3gpuE9ELNS1_3repE0EEENS1_30default_config_static_selectorELNS0_4arch9wavefront6targetE0EEEvS15_, .Lfunc_end3-_ZN7rocprim17ROCPRIM_400000_NS6detail17trampoline_kernelINS0_14default_configENS1_21merge_config_selectorINS0_5tupleIJifEEENS0_10empty_typeEEEZNS1_10merge_implIS3_NS0_12zip_iteratorINS5_IJN6thrust23THRUST_200600_302600_NS6detail15normal_iteratorINSC_10device_ptrIKiEEEENSE_INSF_IKfEEEEEEEEESN_NSA_INS5_IJNSE_INSF_IiEEEENSE_INSF_IfEEEEEEEEEPS7_SU_SU_NSC_11hip_rocprim7__merge17predicate_wrapperIifNSC_4lessIiEEEEEE10hipError_tPvRmT0_T1_T2_T3_T4_T5_mmT6_P12ihipStream_tbEUlT_E_NS1_11comp_targetILNS1_3genE5ELNS1_11target_archE942ELNS1_3gpuE9ELNS1_3repE0EEENS1_30default_config_static_selectorELNS0_4arch9wavefront6targetE0EEEvS15_
                                        ; -- End function
	.set _ZN7rocprim17ROCPRIM_400000_NS6detail17trampoline_kernelINS0_14default_configENS1_21merge_config_selectorINS0_5tupleIJifEEENS0_10empty_typeEEEZNS1_10merge_implIS3_NS0_12zip_iteratorINS5_IJN6thrust23THRUST_200600_302600_NS6detail15normal_iteratorINSC_10device_ptrIKiEEEENSE_INSF_IKfEEEEEEEEESN_NSA_INS5_IJNSE_INSF_IiEEEENSE_INSF_IfEEEEEEEEEPS7_SU_SU_NSC_11hip_rocprim7__merge17predicate_wrapperIifNSC_4lessIiEEEEEE10hipError_tPvRmT0_T1_T2_T3_T4_T5_mmT6_P12ihipStream_tbEUlT_E_NS1_11comp_targetILNS1_3genE5ELNS1_11target_archE942ELNS1_3gpuE9ELNS1_3repE0EEENS1_30default_config_static_selectorELNS0_4arch9wavefront6targetE0EEEvS15_.num_vgpr, 0
	.set _ZN7rocprim17ROCPRIM_400000_NS6detail17trampoline_kernelINS0_14default_configENS1_21merge_config_selectorINS0_5tupleIJifEEENS0_10empty_typeEEEZNS1_10merge_implIS3_NS0_12zip_iteratorINS5_IJN6thrust23THRUST_200600_302600_NS6detail15normal_iteratorINSC_10device_ptrIKiEEEENSE_INSF_IKfEEEEEEEEESN_NSA_INS5_IJNSE_INSF_IiEEEENSE_INSF_IfEEEEEEEEEPS7_SU_SU_NSC_11hip_rocprim7__merge17predicate_wrapperIifNSC_4lessIiEEEEEE10hipError_tPvRmT0_T1_T2_T3_T4_T5_mmT6_P12ihipStream_tbEUlT_E_NS1_11comp_targetILNS1_3genE5ELNS1_11target_archE942ELNS1_3gpuE9ELNS1_3repE0EEENS1_30default_config_static_selectorELNS0_4arch9wavefront6targetE0EEEvS15_.num_agpr, 0
	.set _ZN7rocprim17ROCPRIM_400000_NS6detail17trampoline_kernelINS0_14default_configENS1_21merge_config_selectorINS0_5tupleIJifEEENS0_10empty_typeEEEZNS1_10merge_implIS3_NS0_12zip_iteratorINS5_IJN6thrust23THRUST_200600_302600_NS6detail15normal_iteratorINSC_10device_ptrIKiEEEENSE_INSF_IKfEEEEEEEEESN_NSA_INS5_IJNSE_INSF_IiEEEENSE_INSF_IfEEEEEEEEEPS7_SU_SU_NSC_11hip_rocprim7__merge17predicate_wrapperIifNSC_4lessIiEEEEEE10hipError_tPvRmT0_T1_T2_T3_T4_T5_mmT6_P12ihipStream_tbEUlT_E_NS1_11comp_targetILNS1_3genE5ELNS1_11target_archE942ELNS1_3gpuE9ELNS1_3repE0EEENS1_30default_config_static_selectorELNS0_4arch9wavefront6targetE0EEEvS15_.numbered_sgpr, 0
	.set _ZN7rocprim17ROCPRIM_400000_NS6detail17trampoline_kernelINS0_14default_configENS1_21merge_config_selectorINS0_5tupleIJifEEENS0_10empty_typeEEEZNS1_10merge_implIS3_NS0_12zip_iteratorINS5_IJN6thrust23THRUST_200600_302600_NS6detail15normal_iteratorINSC_10device_ptrIKiEEEENSE_INSF_IKfEEEEEEEEESN_NSA_INS5_IJNSE_INSF_IiEEEENSE_INSF_IfEEEEEEEEEPS7_SU_SU_NSC_11hip_rocprim7__merge17predicate_wrapperIifNSC_4lessIiEEEEEE10hipError_tPvRmT0_T1_T2_T3_T4_T5_mmT6_P12ihipStream_tbEUlT_E_NS1_11comp_targetILNS1_3genE5ELNS1_11target_archE942ELNS1_3gpuE9ELNS1_3repE0EEENS1_30default_config_static_selectorELNS0_4arch9wavefront6targetE0EEEvS15_.num_named_barrier, 0
	.set _ZN7rocprim17ROCPRIM_400000_NS6detail17trampoline_kernelINS0_14default_configENS1_21merge_config_selectorINS0_5tupleIJifEEENS0_10empty_typeEEEZNS1_10merge_implIS3_NS0_12zip_iteratorINS5_IJN6thrust23THRUST_200600_302600_NS6detail15normal_iteratorINSC_10device_ptrIKiEEEENSE_INSF_IKfEEEEEEEEESN_NSA_INS5_IJNSE_INSF_IiEEEENSE_INSF_IfEEEEEEEEEPS7_SU_SU_NSC_11hip_rocprim7__merge17predicate_wrapperIifNSC_4lessIiEEEEEE10hipError_tPvRmT0_T1_T2_T3_T4_T5_mmT6_P12ihipStream_tbEUlT_E_NS1_11comp_targetILNS1_3genE5ELNS1_11target_archE942ELNS1_3gpuE9ELNS1_3repE0EEENS1_30default_config_static_selectorELNS0_4arch9wavefront6targetE0EEEvS15_.private_seg_size, 0
	.set _ZN7rocprim17ROCPRIM_400000_NS6detail17trampoline_kernelINS0_14default_configENS1_21merge_config_selectorINS0_5tupleIJifEEENS0_10empty_typeEEEZNS1_10merge_implIS3_NS0_12zip_iteratorINS5_IJN6thrust23THRUST_200600_302600_NS6detail15normal_iteratorINSC_10device_ptrIKiEEEENSE_INSF_IKfEEEEEEEEESN_NSA_INS5_IJNSE_INSF_IiEEEENSE_INSF_IfEEEEEEEEEPS7_SU_SU_NSC_11hip_rocprim7__merge17predicate_wrapperIifNSC_4lessIiEEEEEE10hipError_tPvRmT0_T1_T2_T3_T4_T5_mmT6_P12ihipStream_tbEUlT_E_NS1_11comp_targetILNS1_3genE5ELNS1_11target_archE942ELNS1_3gpuE9ELNS1_3repE0EEENS1_30default_config_static_selectorELNS0_4arch9wavefront6targetE0EEEvS15_.uses_vcc, 0
	.set _ZN7rocprim17ROCPRIM_400000_NS6detail17trampoline_kernelINS0_14default_configENS1_21merge_config_selectorINS0_5tupleIJifEEENS0_10empty_typeEEEZNS1_10merge_implIS3_NS0_12zip_iteratorINS5_IJN6thrust23THRUST_200600_302600_NS6detail15normal_iteratorINSC_10device_ptrIKiEEEENSE_INSF_IKfEEEEEEEEESN_NSA_INS5_IJNSE_INSF_IiEEEENSE_INSF_IfEEEEEEEEEPS7_SU_SU_NSC_11hip_rocprim7__merge17predicate_wrapperIifNSC_4lessIiEEEEEE10hipError_tPvRmT0_T1_T2_T3_T4_T5_mmT6_P12ihipStream_tbEUlT_E_NS1_11comp_targetILNS1_3genE5ELNS1_11target_archE942ELNS1_3gpuE9ELNS1_3repE0EEENS1_30default_config_static_selectorELNS0_4arch9wavefront6targetE0EEEvS15_.uses_flat_scratch, 0
	.set _ZN7rocprim17ROCPRIM_400000_NS6detail17trampoline_kernelINS0_14default_configENS1_21merge_config_selectorINS0_5tupleIJifEEENS0_10empty_typeEEEZNS1_10merge_implIS3_NS0_12zip_iteratorINS5_IJN6thrust23THRUST_200600_302600_NS6detail15normal_iteratorINSC_10device_ptrIKiEEEENSE_INSF_IKfEEEEEEEEESN_NSA_INS5_IJNSE_INSF_IiEEEENSE_INSF_IfEEEEEEEEEPS7_SU_SU_NSC_11hip_rocprim7__merge17predicate_wrapperIifNSC_4lessIiEEEEEE10hipError_tPvRmT0_T1_T2_T3_T4_T5_mmT6_P12ihipStream_tbEUlT_E_NS1_11comp_targetILNS1_3genE5ELNS1_11target_archE942ELNS1_3gpuE9ELNS1_3repE0EEENS1_30default_config_static_selectorELNS0_4arch9wavefront6targetE0EEEvS15_.has_dyn_sized_stack, 0
	.set _ZN7rocprim17ROCPRIM_400000_NS6detail17trampoline_kernelINS0_14default_configENS1_21merge_config_selectorINS0_5tupleIJifEEENS0_10empty_typeEEEZNS1_10merge_implIS3_NS0_12zip_iteratorINS5_IJN6thrust23THRUST_200600_302600_NS6detail15normal_iteratorINSC_10device_ptrIKiEEEENSE_INSF_IKfEEEEEEEEESN_NSA_INS5_IJNSE_INSF_IiEEEENSE_INSF_IfEEEEEEEEEPS7_SU_SU_NSC_11hip_rocprim7__merge17predicate_wrapperIifNSC_4lessIiEEEEEE10hipError_tPvRmT0_T1_T2_T3_T4_T5_mmT6_P12ihipStream_tbEUlT_E_NS1_11comp_targetILNS1_3genE5ELNS1_11target_archE942ELNS1_3gpuE9ELNS1_3repE0EEENS1_30default_config_static_selectorELNS0_4arch9wavefront6targetE0EEEvS15_.has_recursion, 0
	.set _ZN7rocprim17ROCPRIM_400000_NS6detail17trampoline_kernelINS0_14default_configENS1_21merge_config_selectorINS0_5tupleIJifEEENS0_10empty_typeEEEZNS1_10merge_implIS3_NS0_12zip_iteratorINS5_IJN6thrust23THRUST_200600_302600_NS6detail15normal_iteratorINSC_10device_ptrIKiEEEENSE_INSF_IKfEEEEEEEEESN_NSA_INS5_IJNSE_INSF_IiEEEENSE_INSF_IfEEEEEEEEEPS7_SU_SU_NSC_11hip_rocprim7__merge17predicate_wrapperIifNSC_4lessIiEEEEEE10hipError_tPvRmT0_T1_T2_T3_T4_T5_mmT6_P12ihipStream_tbEUlT_E_NS1_11comp_targetILNS1_3genE5ELNS1_11target_archE942ELNS1_3gpuE9ELNS1_3repE0EEENS1_30default_config_static_selectorELNS0_4arch9wavefront6targetE0EEEvS15_.has_indirect_call, 0
	.section	.AMDGPU.csdata,"",@progbits
; Kernel info:
; codeLenInByte = 0
; TotalNumSgprs: 0
; NumVgprs: 0
; ScratchSize: 0
; MemoryBound: 0
; FloatMode: 240
; IeeeMode: 1
; LDSByteSize: 0 bytes/workgroup (compile time only)
; SGPRBlocks: 0
; VGPRBlocks: 0
; NumSGPRsForWavesPerEU: 1
; NumVGPRsForWavesPerEU: 1
; Occupancy: 16
; WaveLimiterHint : 0
; COMPUTE_PGM_RSRC2:SCRATCH_EN: 0
; COMPUTE_PGM_RSRC2:USER_SGPR: 6
; COMPUTE_PGM_RSRC2:TRAP_HANDLER: 0
; COMPUTE_PGM_RSRC2:TGID_X_EN: 1
; COMPUTE_PGM_RSRC2:TGID_Y_EN: 0
; COMPUTE_PGM_RSRC2:TGID_Z_EN: 0
; COMPUTE_PGM_RSRC2:TIDIG_COMP_CNT: 0
	.section	.text._ZN7rocprim17ROCPRIM_400000_NS6detail17trampoline_kernelINS0_14default_configENS1_21merge_config_selectorINS0_5tupleIJifEEENS0_10empty_typeEEEZNS1_10merge_implIS3_NS0_12zip_iteratorINS5_IJN6thrust23THRUST_200600_302600_NS6detail15normal_iteratorINSC_10device_ptrIKiEEEENSE_INSF_IKfEEEEEEEEESN_NSA_INS5_IJNSE_INSF_IiEEEENSE_INSF_IfEEEEEEEEEPS7_SU_SU_NSC_11hip_rocprim7__merge17predicate_wrapperIifNSC_4lessIiEEEEEE10hipError_tPvRmT0_T1_T2_T3_T4_T5_mmT6_P12ihipStream_tbEUlT_E_NS1_11comp_targetILNS1_3genE4ELNS1_11target_archE910ELNS1_3gpuE8ELNS1_3repE0EEENS1_30default_config_static_selectorELNS0_4arch9wavefront6targetE0EEEvS15_,"axG",@progbits,_ZN7rocprim17ROCPRIM_400000_NS6detail17trampoline_kernelINS0_14default_configENS1_21merge_config_selectorINS0_5tupleIJifEEENS0_10empty_typeEEEZNS1_10merge_implIS3_NS0_12zip_iteratorINS5_IJN6thrust23THRUST_200600_302600_NS6detail15normal_iteratorINSC_10device_ptrIKiEEEENSE_INSF_IKfEEEEEEEEESN_NSA_INS5_IJNSE_INSF_IiEEEENSE_INSF_IfEEEEEEEEEPS7_SU_SU_NSC_11hip_rocprim7__merge17predicate_wrapperIifNSC_4lessIiEEEEEE10hipError_tPvRmT0_T1_T2_T3_T4_T5_mmT6_P12ihipStream_tbEUlT_E_NS1_11comp_targetILNS1_3genE4ELNS1_11target_archE910ELNS1_3gpuE8ELNS1_3repE0EEENS1_30default_config_static_selectorELNS0_4arch9wavefront6targetE0EEEvS15_,comdat
	.protected	_ZN7rocprim17ROCPRIM_400000_NS6detail17trampoline_kernelINS0_14default_configENS1_21merge_config_selectorINS0_5tupleIJifEEENS0_10empty_typeEEEZNS1_10merge_implIS3_NS0_12zip_iteratorINS5_IJN6thrust23THRUST_200600_302600_NS6detail15normal_iteratorINSC_10device_ptrIKiEEEENSE_INSF_IKfEEEEEEEEESN_NSA_INS5_IJNSE_INSF_IiEEEENSE_INSF_IfEEEEEEEEEPS7_SU_SU_NSC_11hip_rocprim7__merge17predicate_wrapperIifNSC_4lessIiEEEEEE10hipError_tPvRmT0_T1_T2_T3_T4_T5_mmT6_P12ihipStream_tbEUlT_E_NS1_11comp_targetILNS1_3genE4ELNS1_11target_archE910ELNS1_3gpuE8ELNS1_3repE0EEENS1_30default_config_static_selectorELNS0_4arch9wavefront6targetE0EEEvS15_ ; -- Begin function _ZN7rocprim17ROCPRIM_400000_NS6detail17trampoline_kernelINS0_14default_configENS1_21merge_config_selectorINS0_5tupleIJifEEENS0_10empty_typeEEEZNS1_10merge_implIS3_NS0_12zip_iteratorINS5_IJN6thrust23THRUST_200600_302600_NS6detail15normal_iteratorINSC_10device_ptrIKiEEEENSE_INSF_IKfEEEEEEEEESN_NSA_INS5_IJNSE_INSF_IiEEEENSE_INSF_IfEEEEEEEEEPS7_SU_SU_NSC_11hip_rocprim7__merge17predicate_wrapperIifNSC_4lessIiEEEEEE10hipError_tPvRmT0_T1_T2_T3_T4_T5_mmT6_P12ihipStream_tbEUlT_E_NS1_11comp_targetILNS1_3genE4ELNS1_11target_archE910ELNS1_3gpuE8ELNS1_3repE0EEENS1_30default_config_static_selectorELNS0_4arch9wavefront6targetE0EEEvS15_
	.globl	_ZN7rocprim17ROCPRIM_400000_NS6detail17trampoline_kernelINS0_14default_configENS1_21merge_config_selectorINS0_5tupleIJifEEENS0_10empty_typeEEEZNS1_10merge_implIS3_NS0_12zip_iteratorINS5_IJN6thrust23THRUST_200600_302600_NS6detail15normal_iteratorINSC_10device_ptrIKiEEEENSE_INSF_IKfEEEEEEEEESN_NSA_INS5_IJNSE_INSF_IiEEEENSE_INSF_IfEEEEEEEEEPS7_SU_SU_NSC_11hip_rocprim7__merge17predicate_wrapperIifNSC_4lessIiEEEEEE10hipError_tPvRmT0_T1_T2_T3_T4_T5_mmT6_P12ihipStream_tbEUlT_E_NS1_11comp_targetILNS1_3genE4ELNS1_11target_archE910ELNS1_3gpuE8ELNS1_3repE0EEENS1_30default_config_static_selectorELNS0_4arch9wavefront6targetE0EEEvS15_
	.p2align	8
	.type	_ZN7rocprim17ROCPRIM_400000_NS6detail17trampoline_kernelINS0_14default_configENS1_21merge_config_selectorINS0_5tupleIJifEEENS0_10empty_typeEEEZNS1_10merge_implIS3_NS0_12zip_iteratorINS5_IJN6thrust23THRUST_200600_302600_NS6detail15normal_iteratorINSC_10device_ptrIKiEEEENSE_INSF_IKfEEEEEEEEESN_NSA_INS5_IJNSE_INSF_IiEEEENSE_INSF_IfEEEEEEEEEPS7_SU_SU_NSC_11hip_rocprim7__merge17predicate_wrapperIifNSC_4lessIiEEEEEE10hipError_tPvRmT0_T1_T2_T3_T4_T5_mmT6_P12ihipStream_tbEUlT_E_NS1_11comp_targetILNS1_3genE4ELNS1_11target_archE910ELNS1_3gpuE8ELNS1_3repE0EEENS1_30default_config_static_selectorELNS0_4arch9wavefront6targetE0EEEvS15_,@function
_ZN7rocprim17ROCPRIM_400000_NS6detail17trampoline_kernelINS0_14default_configENS1_21merge_config_selectorINS0_5tupleIJifEEENS0_10empty_typeEEEZNS1_10merge_implIS3_NS0_12zip_iteratorINS5_IJN6thrust23THRUST_200600_302600_NS6detail15normal_iteratorINSC_10device_ptrIKiEEEENSE_INSF_IKfEEEEEEEEESN_NSA_INS5_IJNSE_INSF_IiEEEENSE_INSF_IfEEEEEEEEEPS7_SU_SU_NSC_11hip_rocprim7__merge17predicate_wrapperIifNSC_4lessIiEEEEEE10hipError_tPvRmT0_T1_T2_T3_T4_T5_mmT6_P12ihipStream_tbEUlT_E_NS1_11comp_targetILNS1_3genE4ELNS1_11target_archE910ELNS1_3gpuE8ELNS1_3repE0EEENS1_30default_config_static_selectorELNS0_4arch9wavefront6targetE0EEEvS15_: ; @_ZN7rocprim17ROCPRIM_400000_NS6detail17trampoline_kernelINS0_14default_configENS1_21merge_config_selectorINS0_5tupleIJifEEENS0_10empty_typeEEEZNS1_10merge_implIS3_NS0_12zip_iteratorINS5_IJN6thrust23THRUST_200600_302600_NS6detail15normal_iteratorINSC_10device_ptrIKiEEEENSE_INSF_IKfEEEEEEEEESN_NSA_INS5_IJNSE_INSF_IiEEEENSE_INSF_IfEEEEEEEEEPS7_SU_SU_NSC_11hip_rocprim7__merge17predicate_wrapperIifNSC_4lessIiEEEEEE10hipError_tPvRmT0_T1_T2_T3_T4_T5_mmT6_P12ihipStream_tbEUlT_E_NS1_11comp_targetILNS1_3genE4ELNS1_11target_archE910ELNS1_3gpuE8ELNS1_3repE0EEENS1_30default_config_static_selectorELNS0_4arch9wavefront6targetE0EEEvS15_
; %bb.0:
	.section	.rodata,"a",@progbits
	.p2align	6, 0x0
	.amdhsa_kernel _ZN7rocprim17ROCPRIM_400000_NS6detail17trampoline_kernelINS0_14default_configENS1_21merge_config_selectorINS0_5tupleIJifEEENS0_10empty_typeEEEZNS1_10merge_implIS3_NS0_12zip_iteratorINS5_IJN6thrust23THRUST_200600_302600_NS6detail15normal_iteratorINSC_10device_ptrIKiEEEENSE_INSF_IKfEEEEEEEEESN_NSA_INS5_IJNSE_INSF_IiEEEENSE_INSF_IfEEEEEEEEEPS7_SU_SU_NSC_11hip_rocprim7__merge17predicate_wrapperIifNSC_4lessIiEEEEEE10hipError_tPvRmT0_T1_T2_T3_T4_T5_mmT6_P12ihipStream_tbEUlT_E_NS1_11comp_targetILNS1_3genE4ELNS1_11target_archE910ELNS1_3gpuE8ELNS1_3repE0EEENS1_30default_config_static_selectorELNS0_4arch9wavefront6targetE0EEEvS15_
		.amdhsa_group_segment_fixed_size 0
		.amdhsa_private_segment_fixed_size 0
		.amdhsa_kernarg_size 64
		.amdhsa_user_sgpr_count 6
		.amdhsa_user_sgpr_private_segment_buffer 1
		.amdhsa_user_sgpr_dispatch_ptr 0
		.amdhsa_user_sgpr_queue_ptr 0
		.amdhsa_user_sgpr_kernarg_segment_ptr 1
		.amdhsa_user_sgpr_dispatch_id 0
		.amdhsa_user_sgpr_flat_scratch_init 0
		.amdhsa_user_sgpr_private_segment_size 0
		.amdhsa_wavefront_size32 1
		.amdhsa_uses_dynamic_stack 0
		.amdhsa_system_sgpr_private_segment_wavefront_offset 0
		.amdhsa_system_sgpr_workgroup_id_x 1
		.amdhsa_system_sgpr_workgroup_id_y 0
		.amdhsa_system_sgpr_workgroup_id_z 0
		.amdhsa_system_sgpr_workgroup_info 0
		.amdhsa_system_vgpr_workitem_id 0
		.amdhsa_next_free_vgpr 1
		.amdhsa_next_free_sgpr 1
		.amdhsa_reserve_vcc 0
		.amdhsa_reserve_flat_scratch 0
		.amdhsa_float_round_mode_32 0
		.amdhsa_float_round_mode_16_64 0
		.amdhsa_float_denorm_mode_32 3
		.amdhsa_float_denorm_mode_16_64 3
		.amdhsa_dx10_clamp 1
		.amdhsa_ieee_mode 1
		.amdhsa_fp16_overflow 0
		.amdhsa_workgroup_processor_mode 1
		.amdhsa_memory_ordered 1
		.amdhsa_forward_progress 1
		.amdhsa_shared_vgpr_count 0
		.amdhsa_exception_fp_ieee_invalid_op 0
		.amdhsa_exception_fp_denorm_src 0
		.amdhsa_exception_fp_ieee_div_zero 0
		.amdhsa_exception_fp_ieee_overflow 0
		.amdhsa_exception_fp_ieee_underflow 0
		.amdhsa_exception_fp_ieee_inexact 0
		.amdhsa_exception_int_div_zero 0
	.end_amdhsa_kernel
	.section	.text._ZN7rocprim17ROCPRIM_400000_NS6detail17trampoline_kernelINS0_14default_configENS1_21merge_config_selectorINS0_5tupleIJifEEENS0_10empty_typeEEEZNS1_10merge_implIS3_NS0_12zip_iteratorINS5_IJN6thrust23THRUST_200600_302600_NS6detail15normal_iteratorINSC_10device_ptrIKiEEEENSE_INSF_IKfEEEEEEEEESN_NSA_INS5_IJNSE_INSF_IiEEEENSE_INSF_IfEEEEEEEEEPS7_SU_SU_NSC_11hip_rocprim7__merge17predicate_wrapperIifNSC_4lessIiEEEEEE10hipError_tPvRmT0_T1_T2_T3_T4_T5_mmT6_P12ihipStream_tbEUlT_E_NS1_11comp_targetILNS1_3genE4ELNS1_11target_archE910ELNS1_3gpuE8ELNS1_3repE0EEENS1_30default_config_static_selectorELNS0_4arch9wavefront6targetE0EEEvS15_,"axG",@progbits,_ZN7rocprim17ROCPRIM_400000_NS6detail17trampoline_kernelINS0_14default_configENS1_21merge_config_selectorINS0_5tupleIJifEEENS0_10empty_typeEEEZNS1_10merge_implIS3_NS0_12zip_iteratorINS5_IJN6thrust23THRUST_200600_302600_NS6detail15normal_iteratorINSC_10device_ptrIKiEEEENSE_INSF_IKfEEEEEEEEESN_NSA_INS5_IJNSE_INSF_IiEEEENSE_INSF_IfEEEEEEEEEPS7_SU_SU_NSC_11hip_rocprim7__merge17predicate_wrapperIifNSC_4lessIiEEEEEE10hipError_tPvRmT0_T1_T2_T3_T4_T5_mmT6_P12ihipStream_tbEUlT_E_NS1_11comp_targetILNS1_3genE4ELNS1_11target_archE910ELNS1_3gpuE8ELNS1_3repE0EEENS1_30default_config_static_selectorELNS0_4arch9wavefront6targetE0EEEvS15_,comdat
.Lfunc_end4:
	.size	_ZN7rocprim17ROCPRIM_400000_NS6detail17trampoline_kernelINS0_14default_configENS1_21merge_config_selectorINS0_5tupleIJifEEENS0_10empty_typeEEEZNS1_10merge_implIS3_NS0_12zip_iteratorINS5_IJN6thrust23THRUST_200600_302600_NS6detail15normal_iteratorINSC_10device_ptrIKiEEEENSE_INSF_IKfEEEEEEEEESN_NSA_INS5_IJNSE_INSF_IiEEEENSE_INSF_IfEEEEEEEEEPS7_SU_SU_NSC_11hip_rocprim7__merge17predicate_wrapperIifNSC_4lessIiEEEEEE10hipError_tPvRmT0_T1_T2_T3_T4_T5_mmT6_P12ihipStream_tbEUlT_E_NS1_11comp_targetILNS1_3genE4ELNS1_11target_archE910ELNS1_3gpuE8ELNS1_3repE0EEENS1_30default_config_static_selectorELNS0_4arch9wavefront6targetE0EEEvS15_, .Lfunc_end4-_ZN7rocprim17ROCPRIM_400000_NS6detail17trampoline_kernelINS0_14default_configENS1_21merge_config_selectorINS0_5tupleIJifEEENS0_10empty_typeEEEZNS1_10merge_implIS3_NS0_12zip_iteratorINS5_IJN6thrust23THRUST_200600_302600_NS6detail15normal_iteratorINSC_10device_ptrIKiEEEENSE_INSF_IKfEEEEEEEEESN_NSA_INS5_IJNSE_INSF_IiEEEENSE_INSF_IfEEEEEEEEEPS7_SU_SU_NSC_11hip_rocprim7__merge17predicate_wrapperIifNSC_4lessIiEEEEEE10hipError_tPvRmT0_T1_T2_T3_T4_T5_mmT6_P12ihipStream_tbEUlT_E_NS1_11comp_targetILNS1_3genE4ELNS1_11target_archE910ELNS1_3gpuE8ELNS1_3repE0EEENS1_30default_config_static_selectorELNS0_4arch9wavefront6targetE0EEEvS15_
                                        ; -- End function
	.set _ZN7rocprim17ROCPRIM_400000_NS6detail17trampoline_kernelINS0_14default_configENS1_21merge_config_selectorINS0_5tupleIJifEEENS0_10empty_typeEEEZNS1_10merge_implIS3_NS0_12zip_iteratorINS5_IJN6thrust23THRUST_200600_302600_NS6detail15normal_iteratorINSC_10device_ptrIKiEEEENSE_INSF_IKfEEEEEEEEESN_NSA_INS5_IJNSE_INSF_IiEEEENSE_INSF_IfEEEEEEEEEPS7_SU_SU_NSC_11hip_rocprim7__merge17predicate_wrapperIifNSC_4lessIiEEEEEE10hipError_tPvRmT0_T1_T2_T3_T4_T5_mmT6_P12ihipStream_tbEUlT_E_NS1_11comp_targetILNS1_3genE4ELNS1_11target_archE910ELNS1_3gpuE8ELNS1_3repE0EEENS1_30default_config_static_selectorELNS0_4arch9wavefront6targetE0EEEvS15_.num_vgpr, 0
	.set _ZN7rocprim17ROCPRIM_400000_NS6detail17trampoline_kernelINS0_14default_configENS1_21merge_config_selectorINS0_5tupleIJifEEENS0_10empty_typeEEEZNS1_10merge_implIS3_NS0_12zip_iteratorINS5_IJN6thrust23THRUST_200600_302600_NS6detail15normal_iteratorINSC_10device_ptrIKiEEEENSE_INSF_IKfEEEEEEEEESN_NSA_INS5_IJNSE_INSF_IiEEEENSE_INSF_IfEEEEEEEEEPS7_SU_SU_NSC_11hip_rocprim7__merge17predicate_wrapperIifNSC_4lessIiEEEEEE10hipError_tPvRmT0_T1_T2_T3_T4_T5_mmT6_P12ihipStream_tbEUlT_E_NS1_11comp_targetILNS1_3genE4ELNS1_11target_archE910ELNS1_3gpuE8ELNS1_3repE0EEENS1_30default_config_static_selectorELNS0_4arch9wavefront6targetE0EEEvS15_.num_agpr, 0
	.set _ZN7rocprim17ROCPRIM_400000_NS6detail17trampoline_kernelINS0_14default_configENS1_21merge_config_selectorINS0_5tupleIJifEEENS0_10empty_typeEEEZNS1_10merge_implIS3_NS0_12zip_iteratorINS5_IJN6thrust23THRUST_200600_302600_NS6detail15normal_iteratorINSC_10device_ptrIKiEEEENSE_INSF_IKfEEEEEEEEESN_NSA_INS5_IJNSE_INSF_IiEEEENSE_INSF_IfEEEEEEEEEPS7_SU_SU_NSC_11hip_rocprim7__merge17predicate_wrapperIifNSC_4lessIiEEEEEE10hipError_tPvRmT0_T1_T2_T3_T4_T5_mmT6_P12ihipStream_tbEUlT_E_NS1_11comp_targetILNS1_3genE4ELNS1_11target_archE910ELNS1_3gpuE8ELNS1_3repE0EEENS1_30default_config_static_selectorELNS0_4arch9wavefront6targetE0EEEvS15_.numbered_sgpr, 0
	.set _ZN7rocprim17ROCPRIM_400000_NS6detail17trampoline_kernelINS0_14default_configENS1_21merge_config_selectorINS0_5tupleIJifEEENS0_10empty_typeEEEZNS1_10merge_implIS3_NS0_12zip_iteratorINS5_IJN6thrust23THRUST_200600_302600_NS6detail15normal_iteratorINSC_10device_ptrIKiEEEENSE_INSF_IKfEEEEEEEEESN_NSA_INS5_IJNSE_INSF_IiEEEENSE_INSF_IfEEEEEEEEEPS7_SU_SU_NSC_11hip_rocprim7__merge17predicate_wrapperIifNSC_4lessIiEEEEEE10hipError_tPvRmT0_T1_T2_T3_T4_T5_mmT6_P12ihipStream_tbEUlT_E_NS1_11comp_targetILNS1_3genE4ELNS1_11target_archE910ELNS1_3gpuE8ELNS1_3repE0EEENS1_30default_config_static_selectorELNS0_4arch9wavefront6targetE0EEEvS15_.num_named_barrier, 0
	.set _ZN7rocprim17ROCPRIM_400000_NS6detail17trampoline_kernelINS0_14default_configENS1_21merge_config_selectorINS0_5tupleIJifEEENS0_10empty_typeEEEZNS1_10merge_implIS3_NS0_12zip_iteratorINS5_IJN6thrust23THRUST_200600_302600_NS6detail15normal_iteratorINSC_10device_ptrIKiEEEENSE_INSF_IKfEEEEEEEEESN_NSA_INS5_IJNSE_INSF_IiEEEENSE_INSF_IfEEEEEEEEEPS7_SU_SU_NSC_11hip_rocprim7__merge17predicate_wrapperIifNSC_4lessIiEEEEEE10hipError_tPvRmT0_T1_T2_T3_T4_T5_mmT6_P12ihipStream_tbEUlT_E_NS1_11comp_targetILNS1_3genE4ELNS1_11target_archE910ELNS1_3gpuE8ELNS1_3repE0EEENS1_30default_config_static_selectorELNS0_4arch9wavefront6targetE0EEEvS15_.private_seg_size, 0
	.set _ZN7rocprim17ROCPRIM_400000_NS6detail17trampoline_kernelINS0_14default_configENS1_21merge_config_selectorINS0_5tupleIJifEEENS0_10empty_typeEEEZNS1_10merge_implIS3_NS0_12zip_iteratorINS5_IJN6thrust23THRUST_200600_302600_NS6detail15normal_iteratorINSC_10device_ptrIKiEEEENSE_INSF_IKfEEEEEEEEESN_NSA_INS5_IJNSE_INSF_IiEEEENSE_INSF_IfEEEEEEEEEPS7_SU_SU_NSC_11hip_rocprim7__merge17predicate_wrapperIifNSC_4lessIiEEEEEE10hipError_tPvRmT0_T1_T2_T3_T4_T5_mmT6_P12ihipStream_tbEUlT_E_NS1_11comp_targetILNS1_3genE4ELNS1_11target_archE910ELNS1_3gpuE8ELNS1_3repE0EEENS1_30default_config_static_selectorELNS0_4arch9wavefront6targetE0EEEvS15_.uses_vcc, 0
	.set _ZN7rocprim17ROCPRIM_400000_NS6detail17trampoline_kernelINS0_14default_configENS1_21merge_config_selectorINS0_5tupleIJifEEENS0_10empty_typeEEEZNS1_10merge_implIS3_NS0_12zip_iteratorINS5_IJN6thrust23THRUST_200600_302600_NS6detail15normal_iteratorINSC_10device_ptrIKiEEEENSE_INSF_IKfEEEEEEEEESN_NSA_INS5_IJNSE_INSF_IiEEEENSE_INSF_IfEEEEEEEEEPS7_SU_SU_NSC_11hip_rocprim7__merge17predicate_wrapperIifNSC_4lessIiEEEEEE10hipError_tPvRmT0_T1_T2_T3_T4_T5_mmT6_P12ihipStream_tbEUlT_E_NS1_11comp_targetILNS1_3genE4ELNS1_11target_archE910ELNS1_3gpuE8ELNS1_3repE0EEENS1_30default_config_static_selectorELNS0_4arch9wavefront6targetE0EEEvS15_.uses_flat_scratch, 0
	.set _ZN7rocprim17ROCPRIM_400000_NS6detail17trampoline_kernelINS0_14default_configENS1_21merge_config_selectorINS0_5tupleIJifEEENS0_10empty_typeEEEZNS1_10merge_implIS3_NS0_12zip_iteratorINS5_IJN6thrust23THRUST_200600_302600_NS6detail15normal_iteratorINSC_10device_ptrIKiEEEENSE_INSF_IKfEEEEEEEEESN_NSA_INS5_IJNSE_INSF_IiEEEENSE_INSF_IfEEEEEEEEEPS7_SU_SU_NSC_11hip_rocprim7__merge17predicate_wrapperIifNSC_4lessIiEEEEEE10hipError_tPvRmT0_T1_T2_T3_T4_T5_mmT6_P12ihipStream_tbEUlT_E_NS1_11comp_targetILNS1_3genE4ELNS1_11target_archE910ELNS1_3gpuE8ELNS1_3repE0EEENS1_30default_config_static_selectorELNS0_4arch9wavefront6targetE0EEEvS15_.has_dyn_sized_stack, 0
	.set _ZN7rocprim17ROCPRIM_400000_NS6detail17trampoline_kernelINS0_14default_configENS1_21merge_config_selectorINS0_5tupleIJifEEENS0_10empty_typeEEEZNS1_10merge_implIS3_NS0_12zip_iteratorINS5_IJN6thrust23THRUST_200600_302600_NS6detail15normal_iteratorINSC_10device_ptrIKiEEEENSE_INSF_IKfEEEEEEEEESN_NSA_INS5_IJNSE_INSF_IiEEEENSE_INSF_IfEEEEEEEEEPS7_SU_SU_NSC_11hip_rocprim7__merge17predicate_wrapperIifNSC_4lessIiEEEEEE10hipError_tPvRmT0_T1_T2_T3_T4_T5_mmT6_P12ihipStream_tbEUlT_E_NS1_11comp_targetILNS1_3genE4ELNS1_11target_archE910ELNS1_3gpuE8ELNS1_3repE0EEENS1_30default_config_static_selectorELNS0_4arch9wavefront6targetE0EEEvS15_.has_recursion, 0
	.set _ZN7rocprim17ROCPRIM_400000_NS6detail17trampoline_kernelINS0_14default_configENS1_21merge_config_selectorINS0_5tupleIJifEEENS0_10empty_typeEEEZNS1_10merge_implIS3_NS0_12zip_iteratorINS5_IJN6thrust23THRUST_200600_302600_NS6detail15normal_iteratorINSC_10device_ptrIKiEEEENSE_INSF_IKfEEEEEEEEESN_NSA_INS5_IJNSE_INSF_IiEEEENSE_INSF_IfEEEEEEEEEPS7_SU_SU_NSC_11hip_rocprim7__merge17predicate_wrapperIifNSC_4lessIiEEEEEE10hipError_tPvRmT0_T1_T2_T3_T4_T5_mmT6_P12ihipStream_tbEUlT_E_NS1_11comp_targetILNS1_3genE4ELNS1_11target_archE910ELNS1_3gpuE8ELNS1_3repE0EEENS1_30default_config_static_selectorELNS0_4arch9wavefront6targetE0EEEvS15_.has_indirect_call, 0
	.section	.AMDGPU.csdata,"",@progbits
; Kernel info:
; codeLenInByte = 0
; TotalNumSgprs: 0
; NumVgprs: 0
; ScratchSize: 0
; MemoryBound: 0
; FloatMode: 240
; IeeeMode: 1
; LDSByteSize: 0 bytes/workgroup (compile time only)
; SGPRBlocks: 0
; VGPRBlocks: 0
; NumSGPRsForWavesPerEU: 1
; NumVGPRsForWavesPerEU: 1
; Occupancy: 16
; WaveLimiterHint : 0
; COMPUTE_PGM_RSRC2:SCRATCH_EN: 0
; COMPUTE_PGM_RSRC2:USER_SGPR: 6
; COMPUTE_PGM_RSRC2:TRAP_HANDLER: 0
; COMPUTE_PGM_RSRC2:TGID_X_EN: 1
; COMPUTE_PGM_RSRC2:TGID_Y_EN: 0
; COMPUTE_PGM_RSRC2:TGID_Z_EN: 0
; COMPUTE_PGM_RSRC2:TIDIG_COMP_CNT: 0
	.section	.text._ZN7rocprim17ROCPRIM_400000_NS6detail17trampoline_kernelINS0_14default_configENS1_21merge_config_selectorINS0_5tupleIJifEEENS0_10empty_typeEEEZNS1_10merge_implIS3_NS0_12zip_iteratorINS5_IJN6thrust23THRUST_200600_302600_NS6detail15normal_iteratorINSC_10device_ptrIKiEEEENSE_INSF_IKfEEEEEEEEESN_NSA_INS5_IJNSE_INSF_IiEEEENSE_INSF_IfEEEEEEEEEPS7_SU_SU_NSC_11hip_rocprim7__merge17predicate_wrapperIifNSC_4lessIiEEEEEE10hipError_tPvRmT0_T1_T2_T3_T4_T5_mmT6_P12ihipStream_tbEUlT_E_NS1_11comp_targetILNS1_3genE3ELNS1_11target_archE908ELNS1_3gpuE7ELNS1_3repE0EEENS1_30default_config_static_selectorELNS0_4arch9wavefront6targetE0EEEvS15_,"axG",@progbits,_ZN7rocprim17ROCPRIM_400000_NS6detail17trampoline_kernelINS0_14default_configENS1_21merge_config_selectorINS0_5tupleIJifEEENS0_10empty_typeEEEZNS1_10merge_implIS3_NS0_12zip_iteratorINS5_IJN6thrust23THRUST_200600_302600_NS6detail15normal_iteratorINSC_10device_ptrIKiEEEENSE_INSF_IKfEEEEEEEEESN_NSA_INS5_IJNSE_INSF_IiEEEENSE_INSF_IfEEEEEEEEEPS7_SU_SU_NSC_11hip_rocprim7__merge17predicate_wrapperIifNSC_4lessIiEEEEEE10hipError_tPvRmT0_T1_T2_T3_T4_T5_mmT6_P12ihipStream_tbEUlT_E_NS1_11comp_targetILNS1_3genE3ELNS1_11target_archE908ELNS1_3gpuE7ELNS1_3repE0EEENS1_30default_config_static_selectorELNS0_4arch9wavefront6targetE0EEEvS15_,comdat
	.protected	_ZN7rocprim17ROCPRIM_400000_NS6detail17trampoline_kernelINS0_14default_configENS1_21merge_config_selectorINS0_5tupleIJifEEENS0_10empty_typeEEEZNS1_10merge_implIS3_NS0_12zip_iteratorINS5_IJN6thrust23THRUST_200600_302600_NS6detail15normal_iteratorINSC_10device_ptrIKiEEEENSE_INSF_IKfEEEEEEEEESN_NSA_INS5_IJNSE_INSF_IiEEEENSE_INSF_IfEEEEEEEEEPS7_SU_SU_NSC_11hip_rocprim7__merge17predicate_wrapperIifNSC_4lessIiEEEEEE10hipError_tPvRmT0_T1_T2_T3_T4_T5_mmT6_P12ihipStream_tbEUlT_E_NS1_11comp_targetILNS1_3genE3ELNS1_11target_archE908ELNS1_3gpuE7ELNS1_3repE0EEENS1_30default_config_static_selectorELNS0_4arch9wavefront6targetE0EEEvS15_ ; -- Begin function _ZN7rocprim17ROCPRIM_400000_NS6detail17trampoline_kernelINS0_14default_configENS1_21merge_config_selectorINS0_5tupleIJifEEENS0_10empty_typeEEEZNS1_10merge_implIS3_NS0_12zip_iteratorINS5_IJN6thrust23THRUST_200600_302600_NS6detail15normal_iteratorINSC_10device_ptrIKiEEEENSE_INSF_IKfEEEEEEEEESN_NSA_INS5_IJNSE_INSF_IiEEEENSE_INSF_IfEEEEEEEEEPS7_SU_SU_NSC_11hip_rocprim7__merge17predicate_wrapperIifNSC_4lessIiEEEEEE10hipError_tPvRmT0_T1_T2_T3_T4_T5_mmT6_P12ihipStream_tbEUlT_E_NS1_11comp_targetILNS1_3genE3ELNS1_11target_archE908ELNS1_3gpuE7ELNS1_3repE0EEENS1_30default_config_static_selectorELNS0_4arch9wavefront6targetE0EEEvS15_
	.globl	_ZN7rocprim17ROCPRIM_400000_NS6detail17trampoline_kernelINS0_14default_configENS1_21merge_config_selectorINS0_5tupleIJifEEENS0_10empty_typeEEEZNS1_10merge_implIS3_NS0_12zip_iteratorINS5_IJN6thrust23THRUST_200600_302600_NS6detail15normal_iteratorINSC_10device_ptrIKiEEEENSE_INSF_IKfEEEEEEEEESN_NSA_INS5_IJNSE_INSF_IiEEEENSE_INSF_IfEEEEEEEEEPS7_SU_SU_NSC_11hip_rocprim7__merge17predicate_wrapperIifNSC_4lessIiEEEEEE10hipError_tPvRmT0_T1_T2_T3_T4_T5_mmT6_P12ihipStream_tbEUlT_E_NS1_11comp_targetILNS1_3genE3ELNS1_11target_archE908ELNS1_3gpuE7ELNS1_3repE0EEENS1_30default_config_static_selectorELNS0_4arch9wavefront6targetE0EEEvS15_
	.p2align	8
	.type	_ZN7rocprim17ROCPRIM_400000_NS6detail17trampoline_kernelINS0_14default_configENS1_21merge_config_selectorINS0_5tupleIJifEEENS0_10empty_typeEEEZNS1_10merge_implIS3_NS0_12zip_iteratorINS5_IJN6thrust23THRUST_200600_302600_NS6detail15normal_iteratorINSC_10device_ptrIKiEEEENSE_INSF_IKfEEEEEEEEESN_NSA_INS5_IJNSE_INSF_IiEEEENSE_INSF_IfEEEEEEEEEPS7_SU_SU_NSC_11hip_rocprim7__merge17predicate_wrapperIifNSC_4lessIiEEEEEE10hipError_tPvRmT0_T1_T2_T3_T4_T5_mmT6_P12ihipStream_tbEUlT_E_NS1_11comp_targetILNS1_3genE3ELNS1_11target_archE908ELNS1_3gpuE7ELNS1_3repE0EEENS1_30default_config_static_selectorELNS0_4arch9wavefront6targetE0EEEvS15_,@function
_ZN7rocprim17ROCPRIM_400000_NS6detail17trampoline_kernelINS0_14default_configENS1_21merge_config_selectorINS0_5tupleIJifEEENS0_10empty_typeEEEZNS1_10merge_implIS3_NS0_12zip_iteratorINS5_IJN6thrust23THRUST_200600_302600_NS6detail15normal_iteratorINSC_10device_ptrIKiEEEENSE_INSF_IKfEEEEEEEEESN_NSA_INS5_IJNSE_INSF_IiEEEENSE_INSF_IfEEEEEEEEEPS7_SU_SU_NSC_11hip_rocprim7__merge17predicate_wrapperIifNSC_4lessIiEEEEEE10hipError_tPvRmT0_T1_T2_T3_T4_T5_mmT6_P12ihipStream_tbEUlT_E_NS1_11comp_targetILNS1_3genE3ELNS1_11target_archE908ELNS1_3gpuE7ELNS1_3repE0EEENS1_30default_config_static_selectorELNS0_4arch9wavefront6targetE0EEEvS15_: ; @_ZN7rocprim17ROCPRIM_400000_NS6detail17trampoline_kernelINS0_14default_configENS1_21merge_config_selectorINS0_5tupleIJifEEENS0_10empty_typeEEEZNS1_10merge_implIS3_NS0_12zip_iteratorINS5_IJN6thrust23THRUST_200600_302600_NS6detail15normal_iteratorINSC_10device_ptrIKiEEEENSE_INSF_IKfEEEEEEEEESN_NSA_INS5_IJNSE_INSF_IiEEEENSE_INSF_IfEEEEEEEEEPS7_SU_SU_NSC_11hip_rocprim7__merge17predicate_wrapperIifNSC_4lessIiEEEEEE10hipError_tPvRmT0_T1_T2_T3_T4_T5_mmT6_P12ihipStream_tbEUlT_E_NS1_11comp_targetILNS1_3genE3ELNS1_11target_archE908ELNS1_3gpuE7ELNS1_3repE0EEENS1_30default_config_static_selectorELNS0_4arch9wavefront6targetE0EEEvS15_
; %bb.0:
	.section	.rodata,"a",@progbits
	.p2align	6, 0x0
	.amdhsa_kernel _ZN7rocprim17ROCPRIM_400000_NS6detail17trampoline_kernelINS0_14default_configENS1_21merge_config_selectorINS0_5tupleIJifEEENS0_10empty_typeEEEZNS1_10merge_implIS3_NS0_12zip_iteratorINS5_IJN6thrust23THRUST_200600_302600_NS6detail15normal_iteratorINSC_10device_ptrIKiEEEENSE_INSF_IKfEEEEEEEEESN_NSA_INS5_IJNSE_INSF_IiEEEENSE_INSF_IfEEEEEEEEEPS7_SU_SU_NSC_11hip_rocprim7__merge17predicate_wrapperIifNSC_4lessIiEEEEEE10hipError_tPvRmT0_T1_T2_T3_T4_T5_mmT6_P12ihipStream_tbEUlT_E_NS1_11comp_targetILNS1_3genE3ELNS1_11target_archE908ELNS1_3gpuE7ELNS1_3repE0EEENS1_30default_config_static_selectorELNS0_4arch9wavefront6targetE0EEEvS15_
		.amdhsa_group_segment_fixed_size 0
		.amdhsa_private_segment_fixed_size 0
		.amdhsa_kernarg_size 64
		.amdhsa_user_sgpr_count 6
		.amdhsa_user_sgpr_private_segment_buffer 1
		.amdhsa_user_sgpr_dispatch_ptr 0
		.amdhsa_user_sgpr_queue_ptr 0
		.amdhsa_user_sgpr_kernarg_segment_ptr 1
		.amdhsa_user_sgpr_dispatch_id 0
		.amdhsa_user_sgpr_flat_scratch_init 0
		.amdhsa_user_sgpr_private_segment_size 0
		.amdhsa_wavefront_size32 1
		.amdhsa_uses_dynamic_stack 0
		.amdhsa_system_sgpr_private_segment_wavefront_offset 0
		.amdhsa_system_sgpr_workgroup_id_x 1
		.amdhsa_system_sgpr_workgroup_id_y 0
		.amdhsa_system_sgpr_workgroup_id_z 0
		.amdhsa_system_sgpr_workgroup_info 0
		.amdhsa_system_vgpr_workitem_id 0
		.amdhsa_next_free_vgpr 1
		.amdhsa_next_free_sgpr 1
		.amdhsa_reserve_vcc 0
		.amdhsa_reserve_flat_scratch 0
		.amdhsa_float_round_mode_32 0
		.amdhsa_float_round_mode_16_64 0
		.amdhsa_float_denorm_mode_32 3
		.amdhsa_float_denorm_mode_16_64 3
		.amdhsa_dx10_clamp 1
		.amdhsa_ieee_mode 1
		.amdhsa_fp16_overflow 0
		.amdhsa_workgroup_processor_mode 1
		.amdhsa_memory_ordered 1
		.amdhsa_forward_progress 1
		.amdhsa_shared_vgpr_count 0
		.amdhsa_exception_fp_ieee_invalid_op 0
		.amdhsa_exception_fp_denorm_src 0
		.amdhsa_exception_fp_ieee_div_zero 0
		.amdhsa_exception_fp_ieee_overflow 0
		.amdhsa_exception_fp_ieee_underflow 0
		.amdhsa_exception_fp_ieee_inexact 0
		.amdhsa_exception_int_div_zero 0
	.end_amdhsa_kernel
	.section	.text._ZN7rocprim17ROCPRIM_400000_NS6detail17trampoline_kernelINS0_14default_configENS1_21merge_config_selectorINS0_5tupleIJifEEENS0_10empty_typeEEEZNS1_10merge_implIS3_NS0_12zip_iteratorINS5_IJN6thrust23THRUST_200600_302600_NS6detail15normal_iteratorINSC_10device_ptrIKiEEEENSE_INSF_IKfEEEEEEEEESN_NSA_INS5_IJNSE_INSF_IiEEEENSE_INSF_IfEEEEEEEEEPS7_SU_SU_NSC_11hip_rocprim7__merge17predicate_wrapperIifNSC_4lessIiEEEEEE10hipError_tPvRmT0_T1_T2_T3_T4_T5_mmT6_P12ihipStream_tbEUlT_E_NS1_11comp_targetILNS1_3genE3ELNS1_11target_archE908ELNS1_3gpuE7ELNS1_3repE0EEENS1_30default_config_static_selectorELNS0_4arch9wavefront6targetE0EEEvS15_,"axG",@progbits,_ZN7rocprim17ROCPRIM_400000_NS6detail17trampoline_kernelINS0_14default_configENS1_21merge_config_selectorINS0_5tupleIJifEEENS0_10empty_typeEEEZNS1_10merge_implIS3_NS0_12zip_iteratorINS5_IJN6thrust23THRUST_200600_302600_NS6detail15normal_iteratorINSC_10device_ptrIKiEEEENSE_INSF_IKfEEEEEEEEESN_NSA_INS5_IJNSE_INSF_IiEEEENSE_INSF_IfEEEEEEEEEPS7_SU_SU_NSC_11hip_rocprim7__merge17predicate_wrapperIifNSC_4lessIiEEEEEE10hipError_tPvRmT0_T1_T2_T3_T4_T5_mmT6_P12ihipStream_tbEUlT_E_NS1_11comp_targetILNS1_3genE3ELNS1_11target_archE908ELNS1_3gpuE7ELNS1_3repE0EEENS1_30default_config_static_selectorELNS0_4arch9wavefront6targetE0EEEvS15_,comdat
.Lfunc_end5:
	.size	_ZN7rocprim17ROCPRIM_400000_NS6detail17trampoline_kernelINS0_14default_configENS1_21merge_config_selectorINS0_5tupleIJifEEENS0_10empty_typeEEEZNS1_10merge_implIS3_NS0_12zip_iteratorINS5_IJN6thrust23THRUST_200600_302600_NS6detail15normal_iteratorINSC_10device_ptrIKiEEEENSE_INSF_IKfEEEEEEEEESN_NSA_INS5_IJNSE_INSF_IiEEEENSE_INSF_IfEEEEEEEEEPS7_SU_SU_NSC_11hip_rocprim7__merge17predicate_wrapperIifNSC_4lessIiEEEEEE10hipError_tPvRmT0_T1_T2_T3_T4_T5_mmT6_P12ihipStream_tbEUlT_E_NS1_11comp_targetILNS1_3genE3ELNS1_11target_archE908ELNS1_3gpuE7ELNS1_3repE0EEENS1_30default_config_static_selectorELNS0_4arch9wavefront6targetE0EEEvS15_, .Lfunc_end5-_ZN7rocprim17ROCPRIM_400000_NS6detail17trampoline_kernelINS0_14default_configENS1_21merge_config_selectorINS0_5tupleIJifEEENS0_10empty_typeEEEZNS1_10merge_implIS3_NS0_12zip_iteratorINS5_IJN6thrust23THRUST_200600_302600_NS6detail15normal_iteratorINSC_10device_ptrIKiEEEENSE_INSF_IKfEEEEEEEEESN_NSA_INS5_IJNSE_INSF_IiEEEENSE_INSF_IfEEEEEEEEEPS7_SU_SU_NSC_11hip_rocprim7__merge17predicate_wrapperIifNSC_4lessIiEEEEEE10hipError_tPvRmT0_T1_T2_T3_T4_T5_mmT6_P12ihipStream_tbEUlT_E_NS1_11comp_targetILNS1_3genE3ELNS1_11target_archE908ELNS1_3gpuE7ELNS1_3repE0EEENS1_30default_config_static_selectorELNS0_4arch9wavefront6targetE0EEEvS15_
                                        ; -- End function
	.set _ZN7rocprim17ROCPRIM_400000_NS6detail17trampoline_kernelINS0_14default_configENS1_21merge_config_selectorINS0_5tupleIJifEEENS0_10empty_typeEEEZNS1_10merge_implIS3_NS0_12zip_iteratorINS5_IJN6thrust23THRUST_200600_302600_NS6detail15normal_iteratorINSC_10device_ptrIKiEEEENSE_INSF_IKfEEEEEEEEESN_NSA_INS5_IJNSE_INSF_IiEEEENSE_INSF_IfEEEEEEEEEPS7_SU_SU_NSC_11hip_rocprim7__merge17predicate_wrapperIifNSC_4lessIiEEEEEE10hipError_tPvRmT0_T1_T2_T3_T4_T5_mmT6_P12ihipStream_tbEUlT_E_NS1_11comp_targetILNS1_3genE3ELNS1_11target_archE908ELNS1_3gpuE7ELNS1_3repE0EEENS1_30default_config_static_selectorELNS0_4arch9wavefront6targetE0EEEvS15_.num_vgpr, 0
	.set _ZN7rocprim17ROCPRIM_400000_NS6detail17trampoline_kernelINS0_14default_configENS1_21merge_config_selectorINS0_5tupleIJifEEENS0_10empty_typeEEEZNS1_10merge_implIS3_NS0_12zip_iteratorINS5_IJN6thrust23THRUST_200600_302600_NS6detail15normal_iteratorINSC_10device_ptrIKiEEEENSE_INSF_IKfEEEEEEEEESN_NSA_INS5_IJNSE_INSF_IiEEEENSE_INSF_IfEEEEEEEEEPS7_SU_SU_NSC_11hip_rocprim7__merge17predicate_wrapperIifNSC_4lessIiEEEEEE10hipError_tPvRmT0_T1_T2_T3_T4_T5_mmT6_P12ihipStream_tbEUlT_E_NS1_11comp_targetILNS1_3genE3ELNS1_11target_archE908ELNS1_3gpuE7ELNS1_3repE0EEENS1_30default_config_static_selectorELNS0_4arch9wavefront6targetE0EEEvS15_.num_agpr, 0
	.set _ZN7rocprim17ROCPRIM_400000_NS6detail17trampoline_kernelINS0_14default_configENS1_21merge_config_selectorINS0_5tupleIJifEEENS0_10empty_typeEEEZNS1_10merge_implIS3_NS0_12zip_iteratorINS5_IJN6thrust23THRUST_200600_302600_NS6detail15normal_iteratorINSC_10device_ptrIKiEEEENSE_INSF_IKfEEEEEEEEESN_NSA_INS5_IJNSE_INSF_IiEEEENSE_INSF_IfEEEEEEEEEPS7_SU_SU_NSC_11hip_rocprim7__merge17predicate_wrapperIifNSC_4lessIiEEEEEE10hipError_tPvRmT0_T1_T2_T3_T4_T5_mmT6_P12ihipStream_tbEUlT_E_NS1_11comp_targetILNS1_3genE3ELNS1_11target_archE908ELNS1_3gpuE7ELNS1_3repE0EEENS1_30default_config_static_selectorELNS0_4arch9wavefront6targetE0EEEvS15_.numbered_sgpr, 0
	.set _ZN7rocprim17ROCPRIM_400000_NS6detail17trampoline_kernelINS0_14default_configENS1_21merge_config_selectorINS0_5tupleIJifEEENS0_10empty_typeEEEZNS1_10merge_implIS3_NS0_12zip_iteratorINS5_IJN6thrust23THRUST_200600_302600_NS6detail15normal_iteratorINSC_10device_ptrIKiEEEENSE_INSF_IKfEEEEEEEEESN_NSA_INS5_IJNSE_INSF_IiEEEENSE_INSF_IfEEEEEEEEEPS7_SU_SU_NSC_11hip_rocprim7__merge17predicate_wrapperIifNSC_4lessIiEEEEEE10hipError_tPvRmT0_T1_T2_T3_T4_T5_mmT6_P12ihipStream_tbEUlT_E_NS1_11comp_targetILNS1_3genE3ELNS1_11target_archE908ELNS1_3gpuE7ELNS1_3repE0EEENS1_30default_config_static_selectorELNS0_4arch9wavefront6targetE0EEEvS15_.num_named_barrier, 0
	.set _ZN7rocprim17ROCPRIM_400000_NS6detail17trampoline_kernelINS0_14default_configENS1_21merge_config_selectorINS0_5tupleIJifEEENS0_10empty_typeEEEZNS1_10merge_implIS3_NS0_12zip_iteratorINS5_IJN6thrust23THRUST_200600_302600_NS6detail15normal_iteratorINSC_10device_ptrIKiEEEENSE_INSF_IKfEEEEEEEEESN_NSA_INS5_IJNSE_INSF_IiEEEENSE_INSF_IfEEEEEEEEEPS7_SU_SU_NSC_11hip_rocprim7__merge17predicate_wrapperIifNSC_4lessIiEEEEEE10hipError_tPvRmT0_T1_T2_T3_T4_T5_mmT6_P12ihipStream_tbEUlT_E_NS1_11comp_targetILNS1_3genE3ELNS1_11target_archE908ELNS1_3gpuE7ELNS1_3repE0EEENS1_30default_config_static_selectorELNS0_4arch9wavefront6targetE0EEEvS15_.private_seg_size, 0
	.set _ZN7rocprim17ROCPRIM_400000_NS6detail17trampoline_kernelINS0_14default_configENS1_21merge_config_selectorINS0_5tupleIJifEEENS0_10empty_typeEEEZNS1_10merge_implIS3_NS0_12zip_iteratorINS5_IJN6thrust23THRUST_200600_302600_NS6detail15normal_iteratorINSC_10device_ptrIKiEEEENSE_INSF_IKfEEEEEEEEESN_NSA_INS5_IJNSE_INSF_IiEEEENSE_INSF_IfEEEEEEEEEPS7_SU_SU_NSC_11hip_rocprim7__merge17predicate_wrapperIifNSC_4lessIiEEEEEE10hipError_tPvRmT0_T1_T2_T3_T4_T5_mmT6_P12ihipStream_tbEUlT_E_NS1_11comp_targetILNS1_3genE3ELNS1_11target_archE908ELNS1_3gpuE7ELNS1_3repE0EEENS1_30default_config_static_selectorELNS0_4arch9wavefront6targetE0EEEvS15_.uses_vcc, 0
	.set _ZN7rocprim17ROCPRIM_400000_NS6detail17trampoline_kernelINS0_14default_configENS1_21merge_config_selectorINS0_5tupleIJifEEENS0_10empty_typeEEEZNS1_10merge_implIS3_NS0_12zip_iteratorINS5_IJN6thrust23THRUST_200600_302600_NS6detail15normal_iteratorINSC_10device_ptrIKiEEEENSE_INSF_IKfEEEEEEEEESN_NSA_INS5_IJNSE_INSF_IiEEEENSE_INSF_IfEEEEEEEEEPS7_SU_SU_NSC_11hip_rocprim7__merge17predicate_wrapperIifNSC_4lessIiEEEEEE10hipError_tPvRmT0_T1_T2_T3_T4_T5_mmT6_P12ihipStream_tbEUlT_E_NS1_11comp_targetILNS1_3genE3ELNS1_11target_archE908ELNS1_3gpuE7ELNS1_3repE0EEENS1_30default_config_static_selectorELNS0_4arch9wavefront6targetE0EEEvS15_.uses_flat_scratch, 0
	.set _ZN7rocprim17ROCPRIM_400000_NS6detail17trampoline_kernelINS0_14default_configENS1_21merge_config_selectorINS0_5tupleIJifEEENS0_10empty_typeEEEZNS1_10merge_implIS3_NS0_12zip_iteratorINS5_IJN6thrust23THRUST_200600_302600_NS6detail15normal_iteratorINSC_10device_ptrIKiEEEENSE_INSF_IKfEEEEEEEEESN_NSA_INS5_IJNSE_INSF_IiEEEENSE_INSF_IfEEEEEEEEEPS7_SU_SU_NSC_11hip_rocprim7__merge17predicate_wrapperIifNSC_4lessIiEEEEEE10hipError_tPvRmT0_T1_T2_T3_T4_T5_mmT6_P12ihipStream_tbEUlT_E_NS1_11comp_targetILNS1_3genE3ELNS1_11target_archE908ELNS1_3gpuE7ELNS1_3repE0EEENS1_30default_config_static_selectorELNS0_4arch9wavefront6targetE0EEEvS15_.has_dyn_sized_stack, 0
	.set _ZN7rocprim17ROCPRIM_400000_NS6detail17trampoline_kernelINS0_14default_configENS1_21merge_config_selectorINS0_5tupleIJifEEENS0_10empty_typeEEEZNS1_10merge_implIS3_NS0_12zip_iteratorINS5_IJN6thrust23THRUST_200600_302600_NS6detail15normal_iteratorINSC_10device_ptrIKiEEEENSE_INSF_IKfEEEEEEEEESN_NSA_INS5_IJNSE_INSF_IiEEEENSE_INSF_IfEEEEEEEEEPS7_SU_SU_NSC_11hip_rocprim7__merge17predicate_wrapperIifNSC_4lessIiEEEEEE10hipError_tPvRmT0_T1_T2_T3_T4_T5_mmT6_P12ihipStream_tbEUlT_E_NS1_11comp_targetILNS1_3genE3ELNS1_11target_archE908ELNS1_3gpuE7ELNS1_3repE0EEENS1_30default_config_static_selectorELNS0_4arch9wavefront6targetE0EEEvS15_.has_recursion, 0
	.set _ZN7rocprim17ROCPRIM_400000_NS6detail17trampoline_kernelINS0_14default_configENS1_21merge_config_selectorINS0_5tupleIJifEEENS0_10empty_typeEEEZNS1_10merge_implIS3_NS0_12zip_iteratorINS5_IJN6thrust23THRUST_200600_302600_NS6detail15normal_iteratorINSC_10device_ptrIKiEEEENSE_INSF_IKfEEEEEEEEESN_NSA_INS5_IJNSE_INSF_IiEEEENSE_INSF_IfEEEEEEEEEPS7_SU_SU_NSC_11hip_rocprim7__merge17predicate_wrapperIifNSC_4lessIiEEEEEE10hipError_tPvRmT0_T1_T2_T3_T4_T5_mmT6_P12ihipStream_tbEUlT_E_NS1_11comp_targetILNS1_3genE3ELNS1_11target_archE908ELNS1_3gpuE7ELNS1_3repE0EEENS1_30default_config_static_selectorELNS0_4arch9wavefront6targetE0EEEvS15_.has_indirect_call, 0
	.section	.AMDGPU.csdata,"",@progbits
; Kernel info:
; codeLenInByte = 0
; TotalNumSgprs: 0
; NumVgprs: 0
; ScratchSize: 0
; MemoryBound: 0
; FloatMode: 240
; IeeeMode: 1
; LDSByteSize: 0 bytes/workgroup (compile time only)
; SGPRBlocks: 0
; VGPRBlocks: 0
; NumSGPRsForWavesPerEU: 1
; NumVGPRsForWavesPerEU: 1
; Occupancy: 16
; WaveLimiterHint : 0
; COMPUTE_PGM_RSRC2:SCRATCH_EN: 0
; COMPUTE_PGM_RSRC2:USER_SGPR: 6
; COMPUTE_PGM_RSRC2:TRAP_HANDLER: 0
; COMPUTE_PGM_RSRC2:TGID_X_EN: 1
; COMPUTE_PGM_RSRC2:TGID_Y_EN: 0
; COMPUTE_PGM_RSRC2:TGID_Z_EN: 0
; COMPUTE_PGM_RSRC2:TIDIG_COMP_CNT: 0
	.section	.text._ZN7rocprim17ROCPRIM_400000_NS6detail17trampoline_kernelINS0_14default_configENS1_21merge_config_selectorINS0_5tupleIJifEEENS0_10empty_typeEEEZNS1_10merge_implIS3_NS0_12zip_iteratorINS5_IJN6thrust23THRUST_200600_302600_NS6detail15normal_iteratorINSC_10device_ptrIKiEEEENSE_INSF_IKfEEEEEEEEESN_NSA_INS5_IJNSE_INSF_IiEEEENSE_INSF_IfEEEEEEEEEPS7_SU_SU_NSC_11hip_rocprim7__merge17predicate_wrapperIifNSC_4lessIiEEEEEE10hipError_tPvRmT0_T1_T2_T3_T4_T5_mmT6_P12ihipStream_tbEUlT_E_NS1_11comp_targetILNS1_3genE2ELNS1_11target_archE906ELNS1_3gpuE6ELNS1_3repE0EEENS1_30default_config_static_selectorELNS0_4arch9wavefront6targetE0EEEvS15_,"axG",@progbits,_ZN7rocprim17ROCPRIM_400000_NS6detail17trampoline_kernelINS0_14default_configENS1_21merge_config_selectorINS0_5tupleIJifEEENS0_10empty_typeEEEZNS1_10merge_implIS3_NS0_12zip_iteratorINS5_IJN6thrust23THRUST_200600_302600_NS6detail15normal_iteratorINSC_10device_ptrIKiEEEENSE_INSF_IKfEEEEEEEEESN_NSA_INS5_IJNSE_INSF_IiEEEENSE_INSF_IfEEEEEEEEEPS7_SU_SU_NSC_11hip_rocprim7__merge17predicate_wrapperIifNSC_4lessIiEEEEEE10hipError_tPvRmT0_T1_T2_T3_T4_T5_mmT6_P12ihipStream_tbEUlT_E_NS1_11comp_targetILNS1_3genE2ELNS1_11target_archE906ELNS1_3gpuE6ELNS1_3repE0EEENS1_30default_config_static_selectorELNS0_4arch9wavefront6targetE0EEEvS15_,comdat
	.protected	_ZN7rocprim17ROCPRIM_400000_NS6detail17trampoline_kernelINS0_14default_configENS1_21merge_config_selectorINS0_5tupleIJifEEENS0_10empty_typeEEEZNS1_10merge_implIS3_NS0_12zip_iteratorINS5_IJN6thrust23THRUST_200600_302600_NS6detail15normal_iteratorINSC_10device_ptrIKiEEEENSE_INSF_IKfEEEEEEEEESN_NSA_INS5_IJNSE_INSF_IiEEEENSE_INSF_IfEEEEEEEEEPS7_SU_SU_NSC_11hip_rocprim7__merge17predicate_wrapperIifNSC_4lessIiEEEEEE10hipError_tPvRmT0_T1_T2_T3_T4_T5_mmT6_P12ihipStream_tbEUlT_E_NS1_11comp_targetILNS1_3genE2ELNS1_11target_archE906ELNS1_3gpuE6ELNS1_3repE0EEENS1_30default_config_static_selectorELNS0_4arch9wavefront6targetE0EEEvS15_ ; -- Begin function _ZN7rocprim17ROCPRIM_400000_NS6detail17trampoline_kernelINS0_14default_configENS1_21merge_config_selectorINS0_5tupleIJifEEENS0_10empty_typeEEEZNS1_10merge_implIS3_NS0_12zip_iteratorINS5_IJN6thrust23THRUST_200600_302600_NS6detail15normal_iteratorINSC_10device_ptrIKiEEEENSE_INSF_IKfEEEEEEEEESN_NSA_INS5_IJNSE_INSF_IiEEEENSE_INSF_IfEEEEEEEEEPS7_SU_SU_NSC_11hip_rocprim7__merge17predicate_wrapperIifNSC_4lessIiEEEEEE10hipError_tPvRmT0_T1_T2_T3_T4_T5_mmT6_P12ihipStream_tbEUlT_E_NS1_11comp_targetILNS1_3genE2ELNS1_11target_archE906ELNS1_3gpuE6ELNS1_3repE0EEENS1_30default_config_static_selectorELNS0_4arch9wavefront6targetE0EEEvS15_
	.globl	_ZN7rocprim17ROCPRIM_400000_NS6detail17trampoline_kernelINS0_14default_configENS1_21merge_config_selectorINS0_5tupleIJifEEENS0_10empty_typeEEEZNS1_10merge_implIS3_NS0_12zip_iteratorINS5_IJN6thrust23THRUST_200600_302600_NS6detail15normal_iteratorINSC_10device_ptrIKiEEEENSE_INSF_IKfEEEEEEEEESN_NSA_INS5_IJNSE_INSF_IiEEEENSE_INSF_IfEEEEEEEEEPS7_SU_SU_NSC_11hip_rocprim7__merge17predicate_wrapperIifNSC_4lessIiEEEEEE10hipError_tPvRmT0_T1_T2_T3_T4_T5_mmT6_P12ihipStream_tbEUlT_E_NS1_11comp_targetILNS1_3genE2ELNS1_11target_archE906ELNS1_3gpuE6ELNS1_3repE0EEENS1_30default_config_static_selectorELNS0_4arch9wavefront6targetE0EEEvS15_
	.p2align	8
	.type	_ZN7rocprim17ROCPRIM_400000_NS6detail17trampoline_kernelINS0_14default_configENS1_21merge_config_selectorINS0_5tupleIJifEEENS0_10empty_typeEEEZNS1_10merge_implIS3_NS0_12zip_iteratorINS5_IJN6thrust23THRUST_200600_302600_NS6detail15normal_iteratorINSC_10device_ptrIKiEEEENSE_INSF_IKfEEEEEEEEESN_NSA_INS5_IJNSE_INSF_IiEEEENSE_INSF_IfEEEEEEEEEPS7_SU_SU_NSC_11hip_rocprim7__merge17predicate_wrapperIifNSC_4lessIiEEEEEE10hipError_tPvRmT0_T1_T2_T3_T4_T5_mmT6_P12ihipStream_tbEUlT_E_NS1_11comp_targetILNS1_3genE2ELNS1_11target_archE906ELNS1_3gpuE6ELNS1_3repE0EEENS1_30default_config_static_selectorELNS0_4arch9wavefront6targetE0EEEvS15_,@function
_ZN7rocprim17ROCPRIM_400000_NS6detail17trampoline_kernelINS0_14default_configENS1_21merge_config_selectorINS0_5tupleIJifEEENS0_10empty_typeEEEZNS1_10merge_implIS3_NS0_12zip_iteratorINS5_IJN6thrust23THRUST_200600_302600_NS6detail15normal_iteratorINSC_10device_ptrIKiEEEENSE_INSF_IKfEEEEEEEEESN_NSA_INS5_IJNSE_INSF_IiEEEENSE_INSF_IfEEEEEEEEEPS7_SU_SU_NSC_11hip_rocprim7__merge17predicate_wrapperIifNSC_4lessIiEEEEEE10hipError_tPvRmT0_T1_T2_T3_T4_T5_mmT6_P12ihipStream_tbEUlT_E_NS1_11comp_targetILNS1_3genE2ELNS1_11target_archE906ELNS1_3gpuE6ELNS1_3repE0EEENS1_30default_config_static_selectorELNS0_4arch9wavefront6targetE0EEEvS15_: ; @_ZN7rocprim17ROCPRIM_400000_NS6detail17trampoline_kernelINS0_14default_configENS1_21merge_config_selectorINS0_5tupleIJifEEENS0_10empty_typeEEEZNS1_10merge_implIS3_NS0_12zip_iteratorINS5_IJN6thrust23THRUST_200600_302600_NS6detail15normal_iteratorINSC_10device_ptrIKiEEEENSE_INSF_IKfEEEEEEEEESN_NSA_INS5_IJNSE_INSF_IiEEEENSE_INSF_IfEEEEEEEEEPS7_SU_SU_NSC_11hip_rocprim7__merge17predicate_wrapperIifNSC_4lessIiEEEEEE10hipError_tPvRmT0_T1_T2_T3_T4_T5_mmT6_P12ihipStream_tbEUlT_E_NS1_11comp_targetILNS1_3genE2ELNS1_11target_archE906ELNS1_3gpuE6ELNS1_3repE0EEENS1_30default_config_static_selectorELNS0_4arch9wavefront6targetE0EEEvS15_
; %bb.0:
	.section	.rodata,"a",@progbits
	.p2align	6, 0x0
	.amdhsa_kernel _ZN7rocprim17ROCPRIM_400000_NS6detail17trampoline_kernelINS0_14default_configENS1_21merge_config_selectorINS0_5tupleIJifEEENS0_10empty_typeEEEZNS1_10merge_implIS3_NS0_12zip_iteratorINS5_IJN6thrust23THRUST_200600_302600_NS6detail15normal_iteratorINSC_10device_ptrIKiEEEENSE_INSF_IKfEEEEEEEEESN_NSA_INS5_IJNSE_INSF_IiEEEENSE_INSF_IfEEEEEEEEEPS7_SU_SU_NSC_11hip_rocprim7__merge17predicate_wrapperIifNSC_4lessIiEEEEEE10hipError_tPvRmT0_T1_T2_T3_T4_T5_mmT6_P12ihipStream_tbEUlT_E_NS1_11comp_targetILNS1_3genE2ELNS1_11target_archE906ELNS1_3gpuE6ELNS1_3repE0EEENS1_30default_config_static_selectorELNS0_4arch9wavefront6targetE0EEEvS15_
		.amdhsa_group_segment_fixed_size 0
		.amdhsa_private_segment_fixed_size 0
		.amdhsa_kernarg_size 64
		.amdhsa_user_sgpr_count 6
		.amdhsa_user_sgpr_private_segment_buffer 1
		.amdhsa_user_sgpr_dispatch_ptr 0
		.amdhsa_user_sgpr_queue_ptr 0
		.amdhsa_user_sgpr_kernarg_segment_ptr 1
		.amdhsa_user_sgpr_dispatch_id 0
		.amdhsa_user_sgpr_flat_scratch_init 0
		.amdhsa_user_sgpr_private_segment_size 0
		.amdhsa_wavefront_size32 1
		.amdhsa_uses_dynamic_stack 0
		.amdhsa_system_sgpr_private_segment_wavefront_offset 0
		.amdhsa_system_sgpr_workgroup_id_x 1
		.amdhsa_system_sgpr_workgroup_id_y 0
		.amdhsa_system_sgpr_workgroup_id_z 0
		.amdhsa_system_sgpr_workgroup_info 0
		.amdhsa_system_vgpr_workitem_id 0
		.amdhsa_next_free_vgpr 1
		.amdhsa_next_free_sgpr 1
		.amdhsa_reserve_vcc 0
		.amdhsa_reserve_flat_scratch 0
		.amdhsa_float_round_mode_32 0
		.amdhsa_float_round_mode_16_64 0
		.amdhsa_float_denorm_mode_32 3
		.amdhsa_float_denorm_mode_16_64 3
		.amdhsa_dx10_clamp 1
		.amdhsa_ieee_mode 1
		.amdhsa_fp16_overflow 0
		.amdhsa_workgroup_processor_mode 1
		.amdhsa_memory_ordered 1
		.amdhsa_forward_progress 1
		.amdhsa_shared_vgpr_count 0
		.amdhsa_exception_fp_ieee_invalid_op 0
		.amdhsa_exception_fp_denorm_src 0
		.amdhsa_exception_fp_ieee_div_zero 0
		.amdhsa_exception_fp_ieee_overflow 0
		.amdhsa_exception_fp_ieee_underflow 0
		.amdhsa_exception_fp_ieee_inexact 0
		.amdhsa_exception_int_div_zero 0
	.end_amdhsa_kernel
	.section	.text._ZN7rocprim17ROCPRIM_400000_NS6detail17trampoline_kernelINS0_14default_configENS1_21merge_config_selectorINS0_5tupleIJifEEENS0_10empty_typeEEEZNS1_10merge_implIS3_NS0_12zip_iteratorINS5_IJN6thrust23THRUST_200600_302600_NS6detail15normal_iteratorINSC_10device_ptrIKiEEEENSE_INSF_IKfEEEEEEEEESN_NSA_INS5_IJNSE_INSF_IiEEEENSE_INSF_IfEEEEEEEEEPS7_SU_SU_NSC_11hip_rocprim7__merge17predicate_wrapperIifNSC_4lessIiEEEEEE10hipError_tPvRmT0_T1_T2_T3_T4_T5_mmT6_P12ihipStream_tbEUlT_E_NS1_11comp_targetILNS1_3genE2ELNS1_11target_archE906ELNS1_3gpuE6ELNS1_3repE0EEENS1_30default_config_static_selectorELNS0_4arch9wavefront6targetE0EEEvS15_,"axG",@progbits,_ZN7rocprim17ROCPRIM_400000_NS6detail17trampoline_kernelINS0_14default_configENS1_21merge_config_selectorINS0_5tupleIJifEEENS0_10empty_typeEEEZNS1_10merge_implIS3_NS0_12zip_iteratorINS5_IJN6thrust23THRUST_200600_302600_NS6detail15normal_iteratorINSC_10device_ptrIKiEEEENSE_INSF_IKfEEEEEEEEESN_NSA_INS5_IJNSE_INSF_IiEEEENSE_INSF_IfEEEEEEEEEPS7_SU_SU_NSC_11hip_rocprim7__merge17predicate_wrapperIifNSC_4lessIiEEEEEE10hipError_tPvRmT0_T1_T2_T3_T4_T5_mmT6_P12ihipStream_tbEUlT_E_NS1_11comp_targetILNS1_3genE2ELNS1_11target_archE906ELNS1_3gpuE6ELNS1_3repE0EEENS1_30default_config_static_selectorELNS0_4arch9wavefront6targetE0EEEvS15_,comdat
.Lfunc_end6:
	.size	_ZN7rocprim17ROCPRIM_400000_NS6detail17trampoline_kernelINS0_14default_configENS1_21merge_config_selectorINS0_5tupleIJifEEENS0_10empty_typeEEEZNS1_10merge_implIS3_NS0_12zip_iteratorINS5_IJN6thrust23THRUST_200600_302600_NS6detail15normal_iteratorINSC_10device_ptrIKiEEEENSE_INSF_IKfEEEEEEEEESN_NSA_INS5_IJNSE_INSF_IiEEEENSE_INSF_IfEEEEEEEEEPS7_SU_SU_NSC_11hip_rocprim7__merge17predicate_wrapperIifNSC_4lessIiEEEEEE10hipError_tPvRmT0_T1_T2_T3_T4_T5_mmT6_P12ihipStream_tbEUlT_E_NS1_11comp_targetILNS1_3genE2ELNS1_11target_archE906ELNS1_3gpuE6ELNS1_3repE0EEENS1_30default_config_static_selectorELNS0_4arch9wavefront6targetE0EEEvS15_, .Lfunc_end6-_ZN7rocprim17ROCPRIM_400000_NS6detail17trampoline_kernelINS0_14default_configENS1_21merge_config_selectorINS0_5tupleIJifEEENS0_10empty_typeEEEZNS1_10merge_implIS3_NS0_12zip_iteratorINS5_IJN6thrust23THRUST_200600_302600_NS6detail15normal_iteratorINSC_10device_ptrIKiEEEENSE_INSF_IKfEEEEEEEEESN_NSA_INS5_IJNSE_INSF_IiEEEENSE_INSF_IfEEEEEEEEEPS7_SU_SU_NSC_11hip_rocprim7__merge17predicate_wrapperIifNSC_4lessIiEEEEEE10hipError_tPvRmT0_T1_T2_T3_T4_T5_mmT6_P12ihipStream_tbEUlT_E_NS1_11comp_targetILNS1_3genE2ELNS1_11target_archE906ELNS1_3gpuE6ELNS1_3repE0EEENS1_30default_config_static_selectorELNS0_4arch9wavefront6targetE0EEEvS15_
                                        ; -- End function
	.set _ZN7rocprim17ROCPRIM_400000_NS6detail17trampoline_kernelINS0_14default_configENS1_21merge_config_selectorINS0_5tupleIJifEEENS0_10empty_typeEEEZNS1_10merge_implIS3_NS0_12zip_iteratorINS5_IJN6thrust23THRUST_200600_302600_NS6detail15normal_iteratorINSC_10device_ptrIKiEEEENSE_INSF_IKfEEEEEEEEESN_NSA_INS5_IJNSE_INSF_IiEEEENSE_INSF_IfEEEEEEEEEPS7_SU_SU_NSC_11hip_rocprim7__merge17predicate_wrapperIifNSC_4lessIiEEEEEE10hipError_tPvRmT0_T1_T2_T3_T4_T5_mmT6_P12ihipStream_tbEUlT_E_NS1_11comp_targetILNS1_3genE2ELNS1_11target_archE906ELNS1_3gpuE6ELNS1_3repE0EEENS1_30default_config_static_selectorELNS0_4arch9wavefront6targetE0EEEvS15_.num_vgpr, 0
	.set _ZN7rocprim17ROCPRIM_400000_NS6detail17trampoline_kernelINS0_14default_configENS1_21merge_config_selectorINS0_5tupleIJifEEENS0_10empty_typeEEEZNS1_10merge_implIS3_NS0_12zip_iteratorINS5_IJN6thrust23THRUST_200600_302600_NS6detail15normal_iteratorINSC_10device_ptrIKiEEEENSE_INSF_IKfEEEEEEEEESN_NSA_INS5_IJNSE_INSF_IiEEEENSE_INSF_IfEEEEEEEEEPS7_SU_SU_NSC_11hip_rocprim7__merge17predicate_wrapperIifNSC_4lessIiEEEEEE10hipError_tPvRmT0_T1_T2_T3_T4_T5_mmT6_P12ihipStream_tbEUlT_E_NS1_11comp_targetILNS1_3genE2ELNS1_11target_archE906ELNS1_3gpuE6ELNS1_3repE0EEENS1_30default_config_static_selectorELNS0_4arch9wavefront6targetE0EEEvS15_.num_agpr, 0
	.set _ZN7rocprim17ROCPRIM_400000_NS6detail17trampoline_kernelINS0_14default_configENS1_21merge_config_selectorINS0_5tupleIJifEEENS0_10empty_typeEEEZNS1_10merge_implIS3_NS0_12zip_iteratorINS5_IJN6thrust23THRUST_200600_302600_NS6detail15normal_iteratorINSC_10device_ptrIKiEEEENSE_INSF_IKfEEEEEEEEESN_NSA_INS5_IJNSE_INSF_IiEEEENSE_INSF_IfEEEEEEEEEPS7_SU_SU_NSC_11hip_rocprim7__merge17predicate_wrapperIifNSC_4lessIiEEEEEE10hipError_tPvRmT0_T1_T2_T3_T4_T5_mmT6_P12ihipStream_tbEUlT_E_NS1_11comp_targetILNS1_3genE2ELNS1_11target_archE906ELNS1_3gpuE6ELNS1_3repE0EEENS1_30default_config_static_selectorELNS0_4arch9wavefront6targetE0EEEvS15_.numbered_sgpr, 0
	.set _ZN7rocprim17ROCPRIM_400000_NS6detail17trampoline_kernelINS0_14default_configENS1_21merge_config_selectorINS0_5tupleIJifEEENS0_10empty_typeEEEZNS1_10merge_implIS3_NS0_12zip_iteratorINS5_IJN6thrust23THRUST_200600_302600_NS6detail15normal_iteratorINSC_10device_ptrIKiEEEENSE_INSF_IKfEEEEEEEEESN_NSA_INS5_IJNSE_INSF_IiEEEENSE_INSF_IfEEEEEEEEEPS7_SU_SU_NSC_11hip_rocprim7__merge17predicate_wrapperIifNSC_4lessIiEEEEEE10hipError_tPvRmT0_T1_T2_T3_T4_T5_mmT6_P12ihipStream_tbEUlT_E_NS1_11comp_targetILNS1_3genE2ELNS1_11target_archE906ELNS1_3gpuE6ELNS1_3repE0EEENS1_30default_config_static_selectorELNS0_4arch9wavefront6targetE0EEEvS15_.num_named_barrier, 0
	.set _ZN7rocprim17ROCPRIM_400000_NS6detail17trampoline_kernelINS0_14default_configENS1_21merge_config_selectorINS0_5tupleIJifEEENS0_10empty_typeEEEZNS1_10merge_implIS3_NS0_12zip_iteratorINS5_IJN6thrust23THRUST_200600_302600_NS6detail15normal_iteratorINSC_10device_ptrIKiEEEENSE_INSF_IKfEEEEEEEEESN_NSA_INS5_IJNSE_INSF_IiEEEENSE_INSF_IfEEEEEEEEEPS7_SU_SU_NSC_11hip_rocprim7__merge17predicate_wrapperIifNSC_4lessIiEEEEEE10hipError_tPvRmT0_T1_T2_T3_T4_T5_mmT6_P12ihipStream_tbEUlT_E_NS1_11comp_targetILNS1_3genE2ELNS1_11target_archE906ELNS1_3gpuE6ELNS1_3repE0EEENS1_30default_config_static_selectorELNS0_4arch9wavefront6targetE0EEEvS15_.private_seg_size, 0
	.set _ZN7rocprim17ROCPRIM_400000_NS6detail17trampoline_kernelINS0_14default_configENS1_21merge_config_selectorINS0_5tupleIJifEEENS0_10empty_typeEEEZNS1_10merge_implIS3_NS0_12zip_iteratorINS5_IJN6thrust23THRUST_200600_302600_NS6detail15normal_iteratorINSC_10device_ptrIKiEEEENSE_INSF_IKfEEEEEEEEESN_NSA_INS5_IJNSE_INSF_IiEEEENSE_INSF_IfEEEEEEEEEPS7_SU_SU_NSC_11hip_rocprim7__merge17predicate_wrapperIifNSC_4lessIiEEEEEE10hipError_tPvRmT0_T1_T2_T3_T4_T5_mmT6_P12ihipStream_tbEUlT_E_NS1_11comp_targetILNS1_3genE2ELNS1_11target_archE906ELNS1_3gpuE6ELNS1_3repE0EEENS1_30default_config_static_selectorELNS0_4arch9wavefront6targetE0EEEvS15_.uses_vcc, 0
	.set _ZN7rocprim17ROCPRIM_400000_NS6detail17trampoline_kernelINS0_14default_configENS1_21merge_config_selectorINS0_5tupleIJifEEENS0_10empty_typeEEEZNS1_10merge_implIS3_NS0_12zip_iteratorINS5_IJN6thrust23THRUST_200600_302600_NS6detail15normal_iteratorINSC_10device_ptrIKiEEEENSE_INSF_IKfEEEEEEEEESN_NSA_INS5_IJNSE_INSF_IiEEEENSE_INSF_IfEEEEEEEEEPS7_SU_SU_NSC_11hip_rocprim7__merge17predicate_wrapperIifNSC_4lessIiEEEEEE10hipError_tPvRmT0_T1_T2_T3_T4_T5_mmT6_P12ihipStream_tbEUlT_E_NS1_11comp_targetILNS1_3genE2ELNS1_11target_archE906ELNS1_3gpuE6ELNS1_3repE0EEENS1_30default_config_static_selectorELNS0_4arch9wavefront6targetE0EEEvS15_.uses_flat_scratch, 0
	.set _ZN7rocprim17ROCPRIM_400000_NS6detail17trampoline_kernelINS0_14default_configENS1_21merge_config_selectorINS0_5tupleIJifEEENS0_10empty_typeEEEZNS1_10merge_implIS3_NS0_12zip_iteratorINS5_IJN6thrust23THRUST_200600_302600_NS6detail15normal_iteratorINSC_10device_ptrIKiEEEENSE_INSF_IKfEEEEEEEEESN_NSA_INS5_IJNSE_INSF_IiEEEENSE_INSF_IfEEEEEEEEEPS7_SU_SU_NSC_11hip_rocprim7__merge17predicate_wrapperIifNSC_4lessIiEEEEEE10hipError_tPvRmT0_T1_T2_T3_T4_T5_mmT6_P12ihipStream_tbEUlT_E_NS1_11comp_targetILNS1_3genE2ELNS1_11target_archE906ELNS1_3gpuE6ELNS1_3repE0EEENS1_30default_config_static_selectorELNS0_4arch9wavefront6targetE0EEEvS15_.has_dyn_sized_stack, 0
	.set _ZN7rocprim17ROCPRIM_400000_NS6detail17trampoline_kernelINS0_14default_configENS1_21merge_config_selectorINS0_5tupleIJifEEENS0_10empty_typeEEEZNS1_10merge_implIS3_NS0_12zip_iteratorINS5_IJN6thrust23THRUST_200600_302600_NS6detail15normal_iteratorINSC_10device_ptrIKiEEEENSE_INSF_IKfEEEEEEEEESN_NSA_INS5_IJNSE_INSF_IiEEEENSE_INSF_IfEEEEEEEEEPS7_SU_SU_NSC_11hip_rocprim7__merge17predicate_wrapperIifNSC_4lessIiEEEEEE10hipError_tPvRmT0_T1_T2_T3_T4_T5_mmT6_P12ihipStream_tbEUlT_E_NS1_11comp_targetILNS1_3genE2ELNS1_11target_archE906ELNS1_3gpuE6ELNS1_3repE0EEENS1_30default_config_static_selectorELNS0_4arch9wavefront6targetE0EEEvS15_.has_recursion, 0
	.set _ZN7rocprim17ROCPRIM_400000_NS6detail17trampoline_kernelINS0_14default_configENS1_21merge_config_selectorINS0_5tupleIJifEEENS0_10empty_typeEEEZNS1_10merge_implIS3_NS0_12zip_iteratorINS5_IJN6thrust23THRUST_200600_302600_NS6detail15normal_iteratorINSC_10device_ptrIKiEEEENSE_INSF_IKfEEEEEEEEESN_NSA_INS5_IJNSE_INSF_IiEEEENSE_INSF_IfEEEEEEEEEPS7_SU_SU_NSC_11hip_rocprim7__merge17predicate_wrapperIifNSC_4lessIiEEEEEE10hipError_tPvRmT0_T1_T2_T3_T4_T5_mmT6_P12ihipStream_tbEUlT_E_NS1_11comp_targetILNS1_3genE2ELNS1_11target_archE906ELNS1_3gpuE6ELNS1_3repE0EEENS1_30default_config_static_selectorELNS0_4arch9wavefront6targetE0EEEvS15_.has_indirect_call, 0
	.section	.AMDGPU.csdata,"",@progbits
; Kernel info:
; codeLenInByte = 0
; TotalNumSgprs: 0
; NumVgprs: 0
; ScratchSize: 0
; MemoryBound: 0
; FloatMode: 240
; IeeeMode: 1
; LDSByteSize: 0 bytes/workgroup (compile time only)
; SGPRBlocks: 0
; VGPRBlocks: 0
; NumSGPRsForWavesPerEU: 1
; NumVGPRsForWavesPerEU: 1
; Occupancy: 16
; WaveLimiterHint : 0
; COMPUTE_PGM_RSRC2:SCRATCH_EN: 0
; COMPUTE_PGM_RSRC2:USER_SGPR: 6
; COMPUTE_PGM_RSRC2:TRAP_HANDLER: 0
; COMPUTE_PGM_RSRC2:TGID_X_EN: 1
; COMPUTE_PGM_RSRC2:TGID_Y_EN: 0
; COMPUTE_PGM_RSRC2:TGID_Z_EN: 0
; COMPUTE_PGM_RSRC2:TIDIG_COMP_CNT: 0
	.section	.text._ZN7rocprim17ROCPRIM_400000_NS6detail17trampoline_kernelINS0_14default_configENS1_21merge_config_selectorINS0_5tupleIJifEEENS0_10empty_typeEEEZNS1_10merge_implIS3_NS0_12zip_iteratorINS5_IJN6thrust23THRUST_200600_302600_NS6detail15normal_iteratorINSC_10device_ptrIKiEEEENSE_INSF_IKfEEEEEEEEESN_NSA_INS5_IJNSE_INSF_IiEEEENSE_INSF_IfEEEEEEEEEPS7_SU_SU_NSC_11hip_rocprim7__merge17predicate_wrapperIifNSC_4lessIiEEEEEE10hipError_tPvRmT0_T1_T2_T3_T4_T5_mmT6_P12ihipStream_tbEUlT_E_NS1_11comp_targetILNS1_3genE10ELNS1_11target_archE1201ELNS1_3gpuE5ELNS1_3repE0EEENS1_30default_config_static_selectorELNS0_4arch9wavefront6targetE0EEEvS15_,"axG",@progbits,_ZN7rocprim17ROCPRIM_400000_NS6detail17trampoline_kernelINS0_14default_configENS1_21merge_config_selectorINS0_5tupleIJifEEENS0_10empty_typeEEEZNS1_10merge_implIS3_NS0_12zip_iteratorINS5_IJN6thrust23THRUST_200600_302600_NS6detail15normal_iteratorINSC_10device_ptrIKiEEEENSE_INSF_IKfEEEEEEEEESN_NSA_INS5_IJNSE_INSF_IiEEEENSE_INSF_IfEEEEEEEEEPS7_SU_SU_NSC_11hip_rocprim7__merge17predicate_wrapperIifNSC_4lessIiEEEEEE10hipError_tPvRmT0_T1_T2_T3_T4_T5_mmT6_P12ihipStream_tbEUlT_E_NS1_11comp_targetILNS1_3genE10ELNS1_11target_archE1201ELNS1_3gpuE5ELNS1_3repE0EEENS1_30default_config_static_selectorELNS0_4arch9wavefront6targetE0EEEvS15_,comdat
	.protected	_ZN7rocprim17ROCPRIM_400000_NS6detail17trampoline_kernelINS0_14default_configENS1_21merge_config_selectorINS0_5tupleIJifEEENS0_10empty_typeEEEZNS1_10merge_implIS3_NS0_12zip_iteratorINS5_IJN6thrust23THRUST_200600_302600_NS6detail15normal_iteratorINSC_10device_ptrIKiEEEENSE_INSF_IKfEEEEEEEEESN_NSA_INS5_IJNSE_INSF_IiEEEENSE_INSF_IfEEEEEEEEEPS7_SU_SU_NSC_11hip_rocprim7__merge17predicate_wrapperIifNSC_4lessIiEEEEEE10hipError_tPvRmT0_T1_T2_T3_T4_T5_mmT6_P12ihipStream_tbEUlT_E_NS1_11comp_targetILNS1_3genE10ELNS1_11target_archE1201ELNS1_3gpuE5ELNS1_3repE0EEENS1_30default_config_static_selectorELNS0_4arch9wavefront6targetE0EEEvS15_ ; -- Begin function _ZN7rocprim17ROCPRIM_400000_NS6detail17trampoline_kernelINS0_14default_configENS1_21merge_config_selectorINS0_5tupleIJifEEENS0_10empty_typeEEEZNS1_10merge_implIS3_NS0_12zip_iteratorINS5_IJN6thrust23THRUST_200600_302600_NS6detail15normal_iteratorINSC_10device_ptrIKiEEEENSE_INSF_IKfEEEEEEEEESN_NSA_INS5_IJNSE_INSF_IiEEEENSE_INSF_IfEEEEEEEEEPS7_SU_SU_NSC_11hip_rocprim7__merge17predicate_wrapperIifNSC_4lessIiEEEEEE10hipError_tPvRmT0_T1_T2_T3_T4_T5_mmT6_P12ihipStream_tbEUlT_E_NS1_11comp_targetILNS1_3genE10ELNS1_11target_archE1201ELNS1_3gpuE5ELNS1_3repE0EEENS1_30default_config_static_selectorELNS0_4arch9wavefront6targetE0EEEvS15_
	.globl	_ZN7rocprim17ROCPRIM_400000_NS6detail17trampoline_kernelINS0_14default_configENS1_21merge_config_selectorINS0_5tupleIJifEEENS0_10empty_typeEEEZNS1_10merge_implIS3_NS0_12zip_iteratorINS5_IJN6thrust23THRUST_200600_302600_NS6detail15normal_iteratorINSC_10device_ptrIKiEEEENSE_INSF_IKfEEEEEEEEESN_NSA_INS5_IJNSE_INSF_IiEEEENSE_INSF_IfEEEEEEEEEPS7_SU_SU_NSC_11hip_rocprim7__merge17predicate_wrapperIifNSC_4lessIiEEEEEE10hipError_tPvRmT0_T1_T2_T3_T4_T5_mmT6_P12ihipStream_tbEUlT_E_NS1_11comp_targetILNS1_3genE10ELNS1_11target_archE1201ELNS1_3gpuE5ELNS1_3repE0EEENS1_30default_config_static_selectorELNS0_4arch9wavefront6targetE0EEEvS15_
	.p2align	8
	.type	_ZN7rocprim17ROCPRIM_400000_NS6detail17trampoline_kernelINS0_14default_configENS1_21merge_config_selectorINS0_5tupleIJifEEENS0_10empty_typeEEEZNS1_10merge_implIS3_NS0_12zip_iteratorINS5_IJN6thrust23THRUST_200600_302600_NS6detail15normal_iteratorINSC_10device_ptrIKiEEEENSE_INSF_IKfEEEEEEEEESN_NSA_INS5_IJNSE_INSF_IiEEEENSE_INSF_IfEEEEEEEEEPS7_SU_SU_NSC_11hip_rocprim7__merge17predicate_wrapperIifNSC_4lessIiEEEEEE10hipError_tPvRmT0_T1_T2_T3_T4_T5_mmT6_P12ihipStream_tbEUlT_E_NS1_11comp_targetILNS1_3genE10ELNS1_11target_archE1201ELNS1_3gpuE5ELNS1_3repE0EEENS1_30default_config_static_selectorELNS0_4arch9wavefront6targetE0EEEvS15_,@function
_ZN7rocprim17ROCPRIM_400000_NS6detail17trampoline_kernelINS0_14default_configENS1_21merge_config_selectorINS0_5tupleIJifEEENS0_10empty_typeEEEZNS1_10merge_implIS3_NS0_12zip_iteratorINS5_IJN6thrust23THRUST_200600_302600_NS6detail15normal_iteratorINSC_10device_ptrIKiEEEENSE_INSF_IKfEEEEEEEEESN_NSA_INS5_IJNSE_INSF_IiEEEENSE_INSF_IfEEEEEEEEEPS7_SU_SU_NSC_11hip_rocprim7__merge17predicate_wrapperIifNSC_4lessIiEEEEEE10hipError_tPvRmT0_T1_T2_T3_T4_T5_mmT6_P12ihipStream_tbEUlT_E_NS1_11comp_targetILNS1_3genE10ELNS1_11target_archE1201ELNS1_3gpuE5ELNS1_3repE0EEENS1_30default_config_static_selectorELNS0_4arch9wavefront6targetE0EEEvS15_: ; @_ZN7rocprim17ROCPRIM_400000_NS6detail17trampoline_kernelINS0_14default_configENS1_21merge_config_selectorINS0_5tupleIJifEEENS0_10empty_typeEEEZNS1_10merge_implIS3_NS0_12zip_iteratorINS5_IJN6thrust23THRUST_200600_302600_NS6detail15normal_iteratorINSC_10device_ptrIKiEEEENSE_INSF_IKfEEEEEEEEESN_NSA_INS5_IJNSE_INSF_IiEEEENSE_INSF_IfEEEEEEEEEPS7_SU_SU_NSC_11hip_rocprim7__merge17predicate_wrapperIifNSC_4lessIiEEEEEE10hipError_tPvRmT0_T1_T2_T3_T4_T5_mmT6_P12ihipStream_tbEUlT_E_NS1_11comp_targetILNS1_3genE10ELNS1_11target_archE1201ELNS1_3gpuE5ELNS1_3repE0EEENS1_30default_config_static_selectorELNS0_4arch9wavefront6targetE0EEEvS15_
; %bb.0:
	.section	.rodata,"a",@progbits
	.p2align	6, 0x0
	.amdhsa_kernel _ZN7rocprim17ROCPRIM_400000_NS6detail17trampoline_kernelINS0_14default_configENS1_21merge_config_selectorINS0_5tupleIJifEEENS0_10empty_typeEEEZNS1_10merge_implIS3_NS0_12zip_iteratorINS5_IJN6thrust23THRUST_200600_302600_NS6detail15normal_iteratorINSC_10device_ptrIKiEEEENSE_INSF_IKfEEEEEEEEESN_NSA_INS5_IJNSE_INSF_IiEEEENSE_INSF_IfEEEEEEEEEPS7_SU_SU_NSC_11hip_rocprim7__merge17predicate_wrapperIifNSC_4lessIiEEEEEE10hipError_tPvRmT0_T1_T2_T3_T4_T5_mmT6_P12ihipStream_tbEUlT_E_NS1_11comp_targetILNS1_3genE10ELNS1_11target_archE1201ELNS1_3gpuE5ELNS1_3repE0EEENS1_30default_config_static_selectorELNS0_4arch9wavefront6targetE0EEEvS15_
		.amdhsa_group_segment_fixed_size 0
		.amdhsa_private_segment_fixed_size 0
		.amdhsa_kernarg_size 64
		.amdhsa_user_sgpr_count 6
		.amdhsa_user_sgpr_private_segment_buffer 1
		.amdhsa_user_sgpr_dispatch_ptr 0
		.amdhsa_user_sgpr_queue_ptr 0
		.amdhsa_user_sgpr_kernarg_segment_ptr 1
		.amdhsa_user_sgpr_dispatch_id 0
		.amdhsa_user_sgpr_flat_scratch_init 0
		.amdhsa_user_sgpr_private_segment_size 0
		.amdhsa_wavefront_size32 1
		.amdhsa_uses_dynamic_stack 0
		.amdhsa_system_sgpr_private_segment_wavefront_offset 0
		.amdhsa_system_sgpr_workgroup_id_x 1
		.amdhsa_system_sgpr_workgroup_id_y 0
		.amdhsa_system_sgpr_workgroup_id_z 0
		.amdhsa_system_sgpr_workgroup_info 0
		.amdhsa_system_vgpr_workitem_id 0
		.amdhsa_next_free_vgpr 1
		.amdhsa_next_free_sgpr 1
		.amdhsa_reserve_vcc 0
		.amdhsa_reserve_flat_scratch 0
		.amdhsa_float_round_mode_32 0
		.amdhsa_float_round_mode_16_64 0
		.amdhsa_float_denorm_mode_32 3
		.amdhsa_float_denorm_mode_16_64 3
		.amdhsa_dx10_clamp 1
		.amdhsa_ieee_mode 1
		.amdhsa_fp16_overflow 0
		.amdhsa_workgroup_processor_mode 1
		.amdhsa_memory_ordered 1
		.amdhsa_forward_progress 1
		.amdhsa_shared_vgpr_count 0
		.amdhsa_exception_fp_ieee_invalid_op 0
		.amdhsa_exception_fp_denorm_src 0
		.amdhsa_exception_fp_ieee_div_zero 0
		.amdhsa_exception_fp_ieee_overflow 0
		.amdhsa_exception_fp_ieee_underflow 0
		.amdhsa_exception_fp_ieee_inexact 0
		.amdhsa_exception_int_div_zero 0
	.end_amdhsa_kernel
	.section	.text._ZN7rocprim17ROCPRIM_400000_NS6detail17trampoline_kernelINS0_14default_configENS1_21merge_config_selectorINS0_5tupleIJifEEENS0_10empty_typeEEEZNS1_10merge_implIS3_NS0_12zip_iteratorINS5_IJN6thrust23THRUST_200600_302600_NS6detail15normal_iteratorINSC_10device_ptrIKiEEEENSE_INSF_IKfEEEEEEEEESN_NSA_INS5_IJNSE_INSF_IiEEEENSE_INSF_IfEEEEEEEEEPS7_SU_SU_NSC_11hip_rocprim7__merge17predicate_wrapperIifNSC_4lessIiEEEEEE10hipError_tPvRmT0_T1_T2_T3_T4_T5_mmT6_P12ihipStream_tbEUlT_E_NS1_11comp_targetILNS1_3genE10ELNS1_11target_archE1201ELNS1_3gpuE5ELNS1_3repE0EEENS1_30default_config_static_selectorELNS0_4arch9wavefront6targetE0EEEvS15_,"axG",@progbits,_ZN7rocprim17ROCPRIM_400000_NS6detail17trampoline_kernelINS0_14default_configENS1_21merge_config_selectorINS0_5tupleIJifEEENS0_10empty_typeEEEZNS1_10merge_implIS3_NS0_12zip_iteratorINS5_IJN6thrust23THRUST_200600_302600_NS6detail15normal_iteratorINSC_10device_ptrIKiEEEENSE_INSF_IKfEEEEEEEEESN_NSA_INS5_IJNSE_INSF_IiEEEENSE_INSF_IfEEEEEEEEEPS7_SU_SU_NSC_11hip_rocprim7__merge17predicate_wrapperIifNSC_4lessIiEEEEEE10hipError_tPvRmT0_T1_T2_T3_T4_T5_mmT6_P12ihipStream_tbEUlT_E_NS1_11comp_targetILNS1_3genE10ELNS1_11target_archE1201ELNS1_3gpuE5ELNS1_3repE0EEENS1_30default_config_static_selectorELNS0_4arch9wavefront6targetE0EEEvS15_,comdat
.Lfunc_end7:
	.size	_ZN7rocprim17ROCPRIM_400000_NS6detail17trampoline_kernelINS0_14default_configENS1_21merge_config_selectorINS0_5tupleIJifEEENS0_10empty_typeEEEZNS1_10merge_implIS3_NS0_12zip_iteratorINS5_IJN6thrust23THRUST_200600_302600_NS6detail15normal_iteratorINSC_10device_ptrIKiEEEENSE_INSF_IKfEEEEEEEEESN_NSA_INS5_IJNSE_INSF_IiEEEENSE_INSF_IfEEEEEEEEEPS7_SU_SU_NSC_11hip_rocprim7__merge17predicate_wrapperIifNSC_4lessIiEEEEEE10hipError_tPvRmT0_T1_T2_T3_T4_T5_mmT6_P12ihipStream_tbEUlT_E_NS1_11comp_targetILNS1_3genE10ELNS1_11target_archE1201ELNS1_3gpuE5ELNS1_3repE0EEENS1_30default_config_static_selectorELNS0_4arch9wavefront6targetE0EEEvS15_, .Lfunc_end7-_ZN7rocprim17ROCPRIM_400000_NS6detail17trampoline_kernelINS0_14default_configENS1_21merge_config_selectorINS0_5tupleIJifEEENS0_10empty_typeEEEZNS1_10merge_implIS3_NS0_12zip_iteratorINS5_IJN6thrust23THRUST_200600_302600_NS6detail15normal_iteratorINSC_10device_ptrIKiEEEENSE_INSF_IKfEEEEEEEEESN_NSA_INS5_IJNSE_INSF_IiEEEENSE_INSF_IfEEEEEEEEEPS7_SU_SU_NSC_11hip_rocprim7__merge17predicate_wrapperIifNSC_4lessIiEEEEEE10hipError_tPvRmT0_T1_T2_T3_T4_T5_mmT6_P12ihipStream_tbEUlT_E_NS1_11comp_targetILNS1_3genE10ELNS1_11target_archE1201ELNS1_3gpuE5ELNS1_3repE0EEENS1_30default_config_static_selectorELNS0_4arch9wavefront6targetE0EEEvS15_
                                        ; -- End function
	.set _ZN7rocprim17ROCPRIM_400000_NS6detail17trampoline_kernelINS0_14default_configENS1_21merge_config_selectorINS0_5tupleIJifEEENS0_10empty_typeEEEZNS1_10merge_implIS3_NS0_12zip_iteratorINS5_IJN6thrust23THRUST_200600_302600_NS6detail15normal_iteratorINSC_10device_ptrIKiEEEENSE_INSF_IKfEEEEEEEEESN_NSA_INS5_IJNSE_INSF_IiEEEENSE_INSF_IfEEEEEEEEEPS7_SU_SU_NSC_11hip_rocprim7__merge17predicate_wrapperIifNSC_4lessIiEEEEEE10hipError_tPvRmT0_T1_T2_T3_T4_T5_mmT6_P12ihipStream_tbEUlT_E_NS1_11comp_targetILNS1_3genE10ELNS1_11target_archE1201ELNS1_3gpuE5ELNS1_3repE0EEENS1_30default_config_static_selectorELNS0_4arch9wavefront6targetE0EEEvS15_.num_vgpr, 0
	.set _ZN7rocprim17ROCPRIM_400000_NS6detail17trampoline_kernelINS0_14default_configENS1_21merge_config_selectorINS0_5tupleIJifEEENS0_10empty_typeEEEZNS1_10merge_implIS3_NS0_12zip_iteratorINS5_IJN6thrust23THRUST_200600_302600_NS6detail15normal_iteratorINSC_10device_ptrIKiEEEENSE_INSF_IKfEEEEEEEEESN_NSA_INS5_IJNSE_INSF_IiEEEENSE_INSF_IfEEEEEEEEEPS7_SU_SU_NSC_11hip_rocprim7__merge17predicate_wrapperIifNSC_4lessIiEEEEEE10hipError_tPvRmT0_T1_T2_T3_T4_T5_mmT6_P12ihipStream_tbEUlT_E_NS1_11comp_targetILNS1_3genE10ELNS1_11target_archE1201ELNS1_3gpuE5ELNS1_3repE0EEENS1_30default_config_static_selectorELNS0_4arch9wavefront6targetE0EEEvS15_.num_agpr, 0
	.set _ZN7rocprim17ROCPRIM_400000_NS6detail17trampoline_kernelINS0_14default_configENS1_21merge_config_selectorINS0_5tupleIJifEEENS0_10empty_typeEEEZNS1_10merge_implIS3_NS0_12zip_iteratorINS5_IJN6thrust23THRUST_200600_302600_NS6detail15normal_iteratorINSC_10device_ptrIKiEEEENSE_INSF_IKfEEEEEEEEESN_NSA_INS5_IJNSE_INSF_IiEEEENSE_INSF_IfEEEEEEEEEPS7_SU_SU_NSC_11hip_rocprim7__merge17predicate_wrapperIifNSC_4lessIiEEEEEE10hipError_tPvRmT0_T1_T2_T3_T4_T5_mmT6_P12ihipStream_tbEUlT_E_NS1_11comp_targetILNS1_3genE10ELNS1_11target_archE1201ELNS1_3gpuE5ELNS1_3repE0EEENS1_30default_config_static_selectorELNS0_4arch9wavefront6targetE0EEEvS15_.numbered_sgpr, 0
	.set _ZN7rocprim17ROCPRIM_400000_NS6detail17trampoline_kernelINS0_14default_configENS1_21merge_config_selectorINS0_5tupleIJifEEENS0_10empty_typeEEEZNS1_10merge_implIS3_NS0_12zip_iteratorINS5_IJN6thrust23THRUST_200600_302600_NS6detail15normal_iteratorINSC_10device_ptrIKiEEEENSE_INSF_IKfEEEEEEEEESN_NSA_INS5_IJNSE_INSF_IiEEEENSE_INSF_IfEEEEEEEEEPS7_SU_SU_NSC_11hip_rocprim7__merge17predicate_wrapperIifNSC_4lessIiEEEEEE10hipError_tPvRmT0_T1_T2_T3_T4_T5_mmT6_P12ihipStream_tbEUlT_E_NS1_11comp_targetILNS1_3genE10ELNS1_11target_archE1201ELNS1_3gpuE5ELNS1_3repE0EEENS1_30default_config_static_selectorELNS0_4arch9wavefront6targetE0EEEvS15_.num_named_barrier, 0
	.set _ZN7rocprim17ROCPRIM_400000_NS6detail17trampoline_kernelINS0_14default_configENS1_21merge_config_selectorINS0_5tupleIJifEEENS0_10empty_typeEEEZNS1_10merge_implIS3_NS0_12zip_iteratorINS5_IJN6thrust23THRUST_200600_302600_NS6detail15normal_iteratorINSC_10device_ptrIKiEEEENSE_INSF_IKfEEEEEEEEESN_NSA_INS5_IJNSE_INSF_IiEEEENSE_INSF_IfEEEEEEEEEPS7_SU_SU_NSC_11hip_rocprim7__merge17predicate_wrapperIifNSC_4lessIiEEEEEE10hipError_tPvRmT0_T1_T2_T3_T4_T5_mmT6_P12ihipStream_tbEUlT_E_NS1_11comp_targetILNS1_3genE10ELNS1_11target_archE1201ELNS1_3gpuE5ELNS1_3repE0EEENS1_30default_config_static_selectorELNS0_4arch9wavefront6targetE0EEEvS15_.private_seg_size, 0
	.set _ZN7rocprim17ROCPRIM_400000_NS6detail17trampoline_kernelINS0_14default_configENS1_21merge_config_selectorINS0_5tupleIJifEEENS0_10empty_typeEEEZNS1_10merge_implIS3_NS0_12zip_iteratorINS5_IJN6thrust23THRUST_200600_302600_NS6detail15normal_iteratorINSC_10device_ptrIKiEEEENSE_INSF_IKfEEEEEEEEESN_NSA_INS5_IJNSE_INSF_IiEEEENSE_INSF_IfEEEEEEEEEPS7_SU_SU_NSC_11hip_rocprim7__merge17predicate_wrapperIifNSC_4lessIiEEEEEE10hipError_tPvRmT0_T1_T2_T3_T4_T5_mmT6_P12ihipStream_tbEUlT_E_NS1_11comp_targetILNS1_3genE10ELNS1_11target_archE1201ELNS1_3gpuE5ELNS1_3repE0EEENS1_30default_config_static_selectorELNS0_4arch9wavefront6targetE0EEEvS15_.uses_vcc, 0
	.set _ZN7rocprim17ROCPRIM_400000_NS6detail17trampoline_kernelINS0_14default_configENS1_21merge_config_selectorINS0_5tupleIJifEEENS0_10empty_typeEEEZNS1_10merge_implIS3_NS0_12zip_iteratorINS5_IJN6thrust23THRUST_200600_302600_NS6detail15normal_iteratorINSC_10device_ptrIKiEEEENSE_INSF_IKfEEEEEEEEESN_NSA_INS5_IJNSE_INSF_IiEEEENSE_INSF_IfEEEEEEEEEPS7_SU_SU_NSC_11hip_rocprim7__merge17predicate_wrapperIifNSC_4lessIiEEEEEE10hipError_tPvRmT0_T1_T2_T3_T4_T5_mmT6_P12ihipStream_tbEUlT_E_NS1_11comp_targetILNS1_3genE10ELNS1_11target_archE1201ELNS1_3gpuE5ELNS1_3repE0EEENS1_30default_config_static_selectorELNS0_4arch9wavefront6targetE0EEEvS15_.uses_flat_scratch, 0
	.set _ZN7rocprim17ROCPRIM_400000_NS6detail17trampoline_kernelINS0_14default_configENS1_21merge_config_selectorINS0_5tupleIJifEEENS0_10empty_typeEEEZNS1_10merge_implIS3_NS0_12zip_iteratorINS5_IJN6thrust23THRUST_200600_302600_NS6detail15normal_iteratorINSC_10device_ptrIKiEEEENSE_INSF_IKfEEEEEEEEESN_NSA_INS5_IJNSE_INSF_IiEEEENSE_INSF_IfEEEEEEEEEPS7_SU_SU_NSC_11hip_rocprim7__merge17predicate_wrapperIifNSC_4lessIiEEEEEE10hipError_tPvRmT0_T1_T2_T3_T4_T5_mmT6_P12ihipStream_tbEUlT_E_NS1_11comp_targetILNS1_3genE10ELNS1_11target_archE1201ELNS1_3gpuE5ELNS1_3repE0EEENS1_30default_config_static_selectorELNS0_4arch9wavefront6targetE0EEEvS15_.has_dyn_sized_stack, 0
	.set _ZN7rocprim17ROCPRIM_400000_NS6detail17trampoline_kernelINS0_14default_configENS1_21merge_config_selectorINS0_5tupleIJifEEENS0_10empty_typeEEEZNS1_10merge_implIS3_NS0_12zip_iteratorINS5_IJN6thrust23THRUST_200600_302600_NS6detail15normal_iteratorINSC_10device_ptrIKiEEEENSE_INSF_IKfEEEEEEEEESN_NSA_INS5_IJNSE_INSF_IiEEEENSE_INSF_IfEEEEEEEEEPS7_SU_SU_NSC_11hip_rocprim7__merge17predicate_wrapperIifNSC_4lessIiEEEEEE10hipError_tPvRmT0_T1_T2_T3_T4_T5_mmT6_P12ihipStream_tbEUlT_E_NS1_11comp_targetILNS1_3genE10ELNS1_11target_archE1201ELNS1_3gpuE5ELNS1_3repE0EEENS1_30default_config_static_selectorELNS0_4arch9wavefront6targetE0EEEvS15_.has_recursion, 0
	.set _ZN7rocprim17ROCPRIM_400000_NS6detail17trampoline_kernelINS0_14default_configENS1_21merge_config_selectorINS0_5tupleIJifEEENS0_10empty_typeEEEZNS1_10merge_implIS3_NS0_12zip_iteratorINS5_IJN6thrust23THRUST_200600_302600_NS6detail15normal_iteratorINSC_10device_ptrIKiEEEENSE_INSF_IKfEEEEEEEEESN_NSA_INS5_IJNSE_INSF_IiEEEENSE_INSF_IfEEEEEEEEEPS7_SU_SU_NSC_11hip_rocprim7__merge17predicate_wrapperIifNSC_4lessIiEEEEEE10hipError_tPvRmT0_T1_T2_T3_T4_T5_mmT6_P12ihipStream_tbEUlT_E_NS1_11comp_targetILNS1_3genE10ELNS1_11target_archE1201ELNS1_3gpuE5ELNS1_3repE0EEENS1_30default_config_static_selectorELNS0_4arch9wavefront6targetE0EEEvS15_.has_indirect_call, 0
	.section	.AMDGPU.csdata,"",@progbits
; Kernel info:
; codeLenInByte = 0
; TotalNumSgprs: 0
; NumVgprs: 0
; ScratchSize: 0
; MemoryBound: 0
; FloatMode: 240
; IeeeMode: 1
; LDSByteSize: 0 bytes/workgroup (compile time only)
; SGPRBlocks: 0
; VGPRBlocks: 0
; NumSGPRsForWavesPerEU: 1
; NumVGPRsForWavesPerEU: 1
; Occupancy: 16
; WaveLimiterHint : 0
; COMPUTE_PGM_RSRC2:SCRATCH_EN: 0
; COMPUTE_PGM_RSRC2:USER_SGPR: 6
; COMPUTE_PGM_RSRC2:TRAP_HANDLER: 0
; COMPUTE_PGM_RSRC2:TGID_X_EN: 1
; COMPUTE_PGM_RSRC2:TGID_Y_EN: 0
; COMPUTE_PGM_RSRC2:TGID_Z_EN: 0
; COMPUTE_PGM_RSRC2:TIDIG_COMP_CNT: 0
	.section	.text._ZN7rocprim17ROCPRIM_400000_NS6detail17trampoline_kernelINS0_14default_configENS1_21merge_config_selectorINS0_5tupleIJifEEENS0_10empty_typeEEEZNS1_10merge_implIS3_NS0_12zip_iteratorINS5_IJN6thrust23THRUST_200600_302600_NS6detail15normal_iteratorINSC_10device_ptrIKiEEEENSE_INSF_IKfEEEEEEEEESN_NSA_INS5_IJNSE_INSF_IiEEEENSE_INSF_IfEEEEEEEEEPS7_SU_SU_NSC_11hip_rocprim7__merge17predicate_wrapperIifNSC_4lessIiEEEEEE10hipError_tPvRmT0_T1_T2_T3_T4_T5_mmT6_P12ihipStream_tbEUlT_E_NS1_11comp_targetILNS1_3genE10ELNS1_11target_archE1200ELNS1_3gpuE4ELNS1_3repE0EEENS1_30default_config_static_selectorELNS0_4arch9wavefront6targetE0EEEvS15_,"axG",@progbits,_ZN7rocprim17ROCPRIM_400000_NS6detail17trampoline_kernelINS0_14default_configENS1_21merge_config_selectorINS0_5tupleIJifEEENS0_10empty_typeEEEZNS1_10merge_implIS3_NS0_12zip_iteratorINS5_IJN6thrust23THRUST_200600_302600_NS6detail15normal_iteratorINSC_10device_ptrIKiEEEENSE_INSF_IKfEEEEEEEEESN_NSA_INS5_IJNSE_INSF_IiEEEENSE_INSF_IfEEEEEEEEEPS7_SU_SU_NSC_11hip_rocprim7__merge17predicate_wrapperIifNSC_4lessIiEEEEEE10hipError_tPvRmT0_T1_T2_T3_T4_T5_mmT6_P12ihipStream_tbEUlT_E_NS1_11comp_targetILNS1_3genE10ELNS1_11target_archE1200ELNS1_3gpuE4ELNS1_3repE0EEENS1_30default_config_static_selectorELNS0_4arch9wavefront6targetE0EEEvS15_,comdat
	.protected	_ZN7rocprim17ROCPRIM_400000_NS6detail17trampoline_kernelINS0_14default_configENS1_21merge_config_selectorINS0_5tupleIJifEEENS0_10empty_typeEEEZNS1_10merge_implIS3_NS0_12zip_iteratorINS5_IJN6thrust23THRUST_200600_302600_NS6detail15normal_iteratorINSC_10device_ptrIKiEEEENSE_INSF_IKfEEEEEEEEESN_NSA_INS5_IJNSE_INSF_IiEEEENSE_INSF_IfEEEEEEEEEPS7_SU_SU_NSC_11hip_rocprim7__merge17predicate_wrapperIifNSC_4lessIiEEEEEE10hipError_tPvRmT0_T1_T2_T3_T4_T5_mmT6_P12ihipStream_tbEUlT_E_NS1_11comp_targetILNS1_3genE10ELNS1_11target_archE1200ELNS1_3gpuE4ELNS1_3repE0EEENS1_30default_config_static_selectorELNS0_4arch9wavefront6targetE0EEEvS15_ ; -- Begin function _ZN7rocprim17ROCPRIM_400000_NS6detail17trampoline_kernelINS0_14default_configENS1_21merge_config_selectorINS0_5tupleIJifEEENS0_10empty_typeEEEZNS1_10merge_implIS3_NS0_12zip_iteratorINS5_IJN6thrust23THRUST_200600_302600_NS6detail15normal_iteratorINSC_10device_ptrIKiEEEENSE_INSF_IKfEEEEEEEEESN_NSA_INS5_IJNSE_INSF_IiEEEENSE_INSF_IfEEEEEEEEEPS7_SU_SU_NSC_11hip_rocprim7__merge17predicate_wrapperIifNSC_4lessIiEEEEEE10hipError_tPvRmT0_T1_T2_T3_T4_T5_mmT6_P12ihipStream_tbEUlT_E_NS1_11comp_targetILNS1_3genE10ELNS1_11target_archE1200ELNS1_3gpuE4ELNS1_3repE0EEENS1_30default_config_static_selectorELNS0_4arch9wavefront6targetE0EEEvS15_
	.globl	_ZN7rocprim17ROCPRIM_400000_NS6detail17trampoline_kernelINS0_14default_configENS1_21merge_config_selectorINS0_5tupleIJifEEENS0_10empty_typeEEEZNS1_10merge_implIS3_NS0_12zip_iteratorINS5_IJN6thrust23THRUST_200600_302600_NS6detail15normal_iteratorINSC_10device_ptrIKiEEEENSE_INSF_IKfEEEEEEEEESN_NSA_INS5_IJNSE_INSF_IiEEEENSE_INSF_IfEEEEEEEEEPS7_SU_SU_NSC_11hip_rocprim7__merge17predicate_wrapperIifNSC_4lessIiEEEEEE10hipError_tPvRmT0_T1_T2_T3_T4_T5_mmT6_P12ihipStream_tbEUlT_E_NS1_11comp_targetILNS1_3genE10ELNS1_11target_archE1200ELNS1_3gpuE4ELNS1_3repE0EEENS1_30default_config_static_selectorELNS0_4arch9wavefront6targetE0EEEvS15_
	.p2align	8
	.type	_ZN7rocprim17ROCPRIM_400000_NS6detail17trampoline_kernelINS0_14default_configENS1_21merge_config_selectorINS0_5tupleIJifEEENS0_10empty_typeEEEZNS1_10merge_implIS3_NS0_12zip_iteratorINS5_IJN6thrust23THRUST_200600_302600_NS6detail15normal_iteratorINSC_10device_ptrIKiEEEENSE_INSF_IKfEEEEEEEEESN_NSA_INS5_IJNSE_INSF_IiEEEENSE_INSF_IfEEEEEEEEEPS7_SU_SU_NSC_11hip_rocprim7__merge17predicate_wrapperIifNSC_4lessIiEEEEEE10hipError_tPvRmT0_T1_T2_T3_T4_T5_mmT6_P12ihipStream_tbEUlT_E_NS1_11comp_targetILNS1_3genE10ELNS1_11target_archE1200ELNS1_3gpuE4ELNS1_3repE0EEENS1_30default_config_static_selectorELNS0_4arch9wavefront6targetE0EEEvS15_,@function
_ZN7rocprim17ROCPRIM_400000_NS6detail17trampoline_kernelINS0_14default_configENS1_21merge_config_selectorINS0_5tupleIJifEEENS0_10empty_typeEEEZNS1_10merge_implIS3_NS0_12zip_iteratorINS5_IJN6thrust23THRUST_200600_302600_NS6detail15normal_iteratorINSC_10device_ptrIKiEEEENSE_INSF_IKfEEEEEEEEESN_NSA_INS5_IJNSE_INSF_IiEEEENSE_INSF_IfEEEEEEEEEPS7_SU_SU_NSC_11hip_rocprim7__merge17predicate_wrapperIifNSC_4lessIiEEEEEE10hipError_tPvRmT0_T1_T2_T3_T4_T5_mmT6_P12ihipStream_tbEUlT_E_NS1_11comp_targetILNS1_3genE10ELNS1_11target_archE1200ELNS1_3gpuE4ELNS1_3repE0EEENS1_30default_config_static_selectorELNS0_4arch9wavefront6targetE0EEEvS15_: ; @_ZN7rocprim17ROCPRIM_400000_NS6detail17trampoline_kernelINS0_14default_configENS1_21merge_config_selectorINS0_5tupleIJifEEENS0_10empty_typeEEEZNS1_10merge_implIS3_NS0_12zip_iteratorINS5_IJN6thrust23THRUST_200600_302600_NS6detail15normal_iteratorINSC_10device_ptrIKiEEEENSE_INSF_IKfEEEEEEEEESN_NSA_INS5_IJNSE_INSF_IiEEEENSE_INSF_IfEEEEEEEEEPS7_SU_SU_NSC_11hip_rocprim7__merge17predicate_wrapperIifNSC_4lessIiEEEEEE10hipError_tPvRmT0_T1_T2_T3_T4_T5_mmT6_P12ihipStream_tbEUlT_E_NS1_11comp_targetILNS1_3genE10ELNS1_11target_archE1200ELNS1_3gpuE4ELNS1_3repE0EEENS1_30default_config_static_selectorELNS0_4arch9wavefront6targetE0EEEvS15_
; %bb.0:
	.section	.rodata,"a",@progbits
	.p2align	6, 0x0
	.amdhsa_kernel _ZN7rocprim17ROCPRIM_400000_NS6detail17trampoline_kernelINS0_14default_configENS1_21merge_config_selectorINS0_5tupleIJifEEENS0_10empty_typeEEEZNS1_10merge_implIS3_NS0_12zip_iteratorINS5_IJN6thrust23THRUST_200600_302600_NS6detail15normal_iteratorINSC_10device_ptrIKiEEEENSE_INSF_IKfEEEEEEEEESN_NSA_INS5_IJNSE_INSF_IiEEEENSE_INSF_IfEEEEEEEEEPS7_SU_SU_NSC_11hip_rocprim7__merge17predicate_wrapperIifNSC_4lessIiEEEEEE10hipError_tPvRmT0_T1_T2_T3_T4_T5_mmT6_P12ihipStream_tbEUlT_E_NS1_11comp_targetILNS1_3genE10ELNS1_11target_archE1200ELNS1_3gpuE4ELNS1_3repE0EEENS1_30default_config_static_selectorELNS0_4arch9wavefront6targetE0EEEvS15_
		.amdhsa_group_segment_fixed_size 0
		.amdhsa_private_segment_fixed_size 0
		.amdhsa_kernarg_size 64
		.amdhsa_user_sgpr_count 6
		.amdhsa_user_sgpr_private_segment_buffer 1
		.amdhsa_user_sgpr_dispatch_ptr 0
		.amdhsa_user_sgpr_queue_ptr 0
		.amdhsa_user_sgpr_kernarg_segment_ptr 1
		.amdhsa_user_sgpr_dispatch_id 0
		.amdhsa_user_sgpr_flat_scratch_init 0
		.amdhsa_user_sgpr_private_segment_size 0
		.amdhsa_wavefront_size32 1
		.amdhsa_uses_dynamic_stack 0
		.amdhsa_system_sgpr_private_segment_wavefront_offset 0
		.amdhsa_system_sgpr_workgroup_id_x 1
		.amdhsa_system_sgpr_workgroup_id_y 0
		.amdhsa_system_sgpr_workgroup_id_z 0
		.amdhsa_system_sgpr_workgroup_info 0
		.amdhsa_system_vgpr_workitem_id 0
		.amdhsa_next_free_vgpr 1
		.amdhsa_next_free_sgpr 1
		.amdhsa_reserve_vcc 0
		.amdhsa_reserve_flat_scratch 0
		.amdhsa_float_round_mode_32 0
		.amdhsa_float_round_mode_16_64 0
		.amdhsa_float_denorm_mode_32 3
		.amdhsa_float_denorm_mode_16_64 3
		.amdhsa_dx10_clamp 1
		.amdhsa_ieee_mode 1
		.amdhsa_fp16_overflow 0
		.amdhsa_workgroup_processor_mode 1
		.amdhsa_memory_ordered 1
		.amdhsa_forward_progress 1
		.amdhsa_shared_vgpr_count 0
		.amdhsa_exception_fp_ieee_invalid_op 0
		.amdhsa_exception_fp_denorm_src 0
		.amdhsa_exception_fp_ieee_div_zero 0
		.amdhsa_exception_fp_ieee_overflow 0
		.amdhsa_exception_fp_ieee_underflow 0
		.amdhsa_exception_fp_ieee_inexact 0
		.amdhsa_exception_int_div_zero 0
	.end_amdhsa_kernel
	.section	.text._ZN7rocprim17ROCPRIM_400000_NS6detail17trampoline_kernelINS0_14default_configENS1_21merge_config_selectorINS0_5tupleIJifEEENS0_10empty_typeEEEZNS1_10merge_implIS3_NS0_12zip_iteratorINS5_IJN6thrust23THRUST_200600_302600_NS6detail15normal_iteratorINSC_10device_ptrIKiEEEENSE_INSF_IKfEEEEEEEEESN_NSA_INS5_IJNSE_INSF_IiEEEENSE_INSF_IfEEEEEEEEEPS7_SU_SU_NSC_11hip_rocprim7__merge17predicate_wrapperIifNSC_4lessIiEEEEEE10hipError_tPvRmT0_T1_T2_T3_T4_T5_mmT6_P12ihipStream_tbEUlT_E_NS1_11comp_targetILNS1_3genE10ELNS1_11target_archE1200ELNS1_3gpuE4ELNS1_3repE0EEENS1_30default_config_static_selectorELNS0_4arch9wavefront6targetE0EEEvS15_,"axG",@progbits,_ZN7rocprim17ROCPRIM_400000_NS6detail17trampoline_kernelINS0_14default_configENS1_21merge_config_selectorINS0_5tupleIJifEEENS0_10empty_typeEEEZNS1_10merge_implIS3_NS0_12zip_iteratorINS5_IJN6thrust23THRUST_200600_302600_NS6detail15normal_iteratorINSC_10device_ptrIKiEEEENSE_INSF_IKfEEEEEEEEESN_NSA_INS5_IJNSE_INSF_IiEEEENSE_INSF_IfEEEEEEEEEPS7_SU_SU_NSC_11hip_rocprim7__merge17predicate_wrapperIifNSC_4lessIiEEEEEE10hipError_tPvRmT0_T1_T2_T3_T4_T5_mmT6_P12ihipStream_tbEUlT_E_NS1_11comp_targetILNS1_3genE10ELNS1_11target_archE1200ELNS1_3gpuE4ELNS1_3repE0EEENS1_30default_config_static_selectorELNS0_4arch9wavefront6targetE0EEEvS15_,comdat
.Lfunc_end8:
	.size	_ZN7rocprim17ROCPRIM_400000_NS6detail17trampoline_kernelINS0_14default_configENS1_21merge_config_selectorINS0_5tupleIJifEEENS0_10empty_typeEEEZNS1_10merge_implIS3_NS0_12zip_iteratorINS5_IJN6thrust23THRUST_200600_302600_NS6detail15normal_iteratorINSC_10device_ptrIKiEEEENSE_INSF_IKfEEEEEEEEESN_NSA_INS5_IJNSE_INSF_IiEEEENSE_INSF_IfEEEEEEEEEPS7_SU_SU_NSC_11hip_rocprim7__merge17predicate_wrapperIifNSC_4lessIiEEEEEE10hipError_tPvRmT0_T1_T2_T3_T4_T5_mmT6_P12ihipStream_tbEUlT_E_NS1_11comp_targetILNS1_3genE10ELNS1_11target_archE1200ELNS1_3gpuE4ELNS1_3repE0EEENS1_30default_config_static_selectorELNS0_4arch9wavefront6targetE0EEEvS15_, .Lfunc_end8-_ZN7rocprim17ROCPRIM_400000_NS6detail17trampoline_kernelINS0_14default_configENS1_21merge_config_selectorINS0_5tupleIJifEEENS0_10empty_typeEEEZNS1_10merge_implIS3_NS0_12zip_iteratorINS5_IJN6thrust23THRUST_200600_302600_NS6detail15normal_iteratorINSC_10device_ptrIKiEEEENSE_INSF_IKfEEEEEEEEESN_NSA_INS5_IJNSE_INSF_IiEEEENSE_INSF_IfEEEEEEEEEPS7_SU_SU_NSC_11hip_rocprim7__merge17predicate_wrapperIifNSC_4lessIiEEEEEE10hipError_tPvRmT0_T1_T2_T3_T4_T5_mmT6_P12ihipStream_tbEUlT_E_NS1_11comp_targetILNS1_3genE10ELNS1_11target_archE1200ELNS1_3gpuE4ELNS1_3repE0EEENS1_30default_config_static_selectorELNS0_4arch9wavefront6targetE0EEEvS15_
                                        ; -- End function
	.set _ZN7rocprim17ROCPRIM_400000_NS6detail17trampoline_kernelINS0_14default_configENS1_21merge_config_selectorINS0_5tupleIJifEEENS0_10empty_typeEEEZNS1_10merge_implIS3_NS0_12zip_iteratorINS5_IJN6thrust23THRUST_200600_302600_NS6detail15normal_iteratorINSC_10device_ptrIKiEEEENSE_INSF_IKfEEEEEEEEESN_NSA_INS5_IJNSE_INSF_IiEEEENSE_INSF_IfEEEEEEEEEPS7_SU_SU_NSC_11hip_rocprim7__merge17predicate_wrapperIifNSC_4lessIiEEEEEE10hipError_tPvRmT0_T1_T2_T3_T4_T5_mmT6_P12ihipStream_tbEUlT_E_NS1_11comp_targetILNS1_3genE10ELNS1_11target_archE1200ELNS1_3gpuE4ELNS1_3repE0EEENS1_30default_config_static_selectorELNS0_4arch9wavefront6targetE0EEEvS15_.num_vgpr, 0
	.set _ZN7rocprim17ROCPRIM_400000_NS6detail17trampoline_kernelINS0_14default_configENS1_21merge_config_selectorINS0_5tupleIJifEEENS0_10empty_typeEEEZNS1_10merge_implIS3_NS0_12zip_iteratorINS5_IJN6thrust23THRUST_200600_302600_NS6detail15normal_iteratorINSC_10device_ptrIKiEEEENSE_INSF_IKfEEEEEEEEESN_NSA_INS5_IJNSE_INSF_IiEEEENSE_INSF_IfEEEEEEEEEPS7_SU_SU_NSC_11hip_rocprim7__merge17predicate_wrapperIifNSC_4lessIiEEEEEE10hipError_tPvRmT0_T1_T2_T3_T4_T5_mmT6_P12ihipStream_tbEUlT_E_NS1_11comp_targetILNS1_3genE10ELNS1_11target_archE1200ELNS1_3gpuE4ELNS1_3repE0EEENS1_30default_config_static_selectorELNS0_4arch9wavefront6targetE0EEEvS15_.num_agpr, 0
	.set _ZN7rocprim17ROCPRIM_400000_NS6detail17trampoline_kernelINS0_14default_configENS1_21merge_config_selectorINS0_5tupleIJifEEENS0_10empty_typeEEEZNS1_10merge_implIS3_NS0_12zip_iteratorINS5_IJN6thrust23THRUST_200600_302600_NS6detail15normal_iteratorINSC_10device_ptrIKiEEEENSE_INSF_IKfEEEEEEEEESN_NSA_INS5_IJNSE_INSF_IiEEEENSE_INSF_IfEEEEEEEEEPS7_SU_SU_NSC_11hip_rocprim7__merge17predicate_wrapperIifNSC_4lessIiEEEEEE10hipError_tPvRmT0_T1_T2_T3_T4_T5_mmT6_P12ihipStream_tbEUlT_E_NS1_11comp_targetILNS1_3genE10ELNS1_11target_archE1200ELNS1_3gpuE4ELNS1_3repE0EEENS1_30default_config_static_selectorELNS0_4arch9wavefront6targetE0EEEvS15_.numbered_sgpr, 0
	.set _ZN7rocprim17ROCPRIM_400000_NS6detail17trampoline_kernelINS0_14default_configENS1_21merge_config_selectorINS0_5tupleIJifEEENS0_10empty_typeEEEZNS1_10merge_implIS3_NS0_12zip_iteratorINS5_IJN6thrust23THRUST_200600_302600_NS6detail15normal_iteratorINSC_10device_ptrIKiEEEENSE_INSF_IKfEEEEEEEEESN_NSA_INS5_IJNSE_INSF_IiEEEENSE_INSF_IfEEEEEEEEEPS7_SU_SU_NSC_11hip_rocprim7__merge17predicate_wrapperIifNSC_4lessIiEEEEEE10hipError_tPvRmT0_T1_T2_T3_T4_T5_mmT6_P12ihipStream_tbEUlT_E_NS1_11comp_targetILNS1_3genE10ELNS1_11target_archE1200ELNS1_3gpuE4ELNS1_3repE0EEENS1_30default_config_static_selectorELNS0_4arch9wavefront6targetE0EEEvS15_.num_named_barrier, 0
	.set _ZN7rocprim17ROCPRIM_400000_NS6detail17trampoline_kernelINS0_14default_configENS1_21merge_config_selectorINS0_5tupleIJifEEENS0_10empty_typeEEEZNS1_10merge_implIS3_NS0_12zip_iteratorINS5_IJN6thrust23THRUST_200600_302600_NS6detail15normal_iteratorINSC_10device_ptrIKiEEEENSE_INSF_IKfEEEEEEEEESN_NSA_INS5_IJNSE_INSF_IiEEEENSE_INSF_IfEEEEEEEEEPS7_SU_SU_NSC_11hip_rocprim7__merge17predicate_wrapperIifNSC_4lessIiEEEEEE10hipError_tPvRmT0_T1_T2_T3_T4_T5_mmT6_P12ihipStream_tbEUlT_E_NS1_11comp_targetILNS1_3genE10ELNS1_11target_archE1200ELNS1_3gpuE4ELNS1_3repE0EEENS1_30default_config_static_selectorELNS0_4arch9wavefront6targetE0EEEvS15_.private_seg_size, 0
	.set _ZN7rocprim17ROCPRIM_400000_NS6detail17trampoline_kernelINS0_14default_configENS1_21merge_config_selectorINS0_5tupleIJifEEENS0_10empty_typeEEEZNS1_10merge_implIS3_NS0_12zip_iteratorINS5_IJN6thrust23THRUST_200600_302600_NS6detail15normal_iteratorINSC_10device_ptrIKiEEEENSE_INSF_IKfEEEEEEEEESN_NSA_INS5_IJNSE_INSF_IiEEEENSE_INSF_IfEEEEEEEEEPS7_SU_SU_NSC_11hip_rocprim7__merge17predicate_wrapperIifNSC_4lessIiEEEEEE10hipError_tPvRmT0_T1_T2_T3_T4_T5_mmT6_P12ihipStream_tbEUlT_E_NS1_11comp_targetILNS1_3genE10ELNS1_11target_archE1200ELNS1_3gpuE4ELNS1_3repE0EEENS1_30default_config_static_selectorELNS0_4arch9wavefront6targetE0EEEvS15_.uses_vcc, 0
	.set _ZN7rocprim17ROCPRIM_400000_NS6detail17trampoline_kernelINS0_14default_configENS1_21merge_config_selectorINS0_5tupleIJifEEENS0_10empty_typeEEEZNS1_10merge_implIS3_NS0_12zip_iteratorINS5_IJN6thrust23THRUST_200600_302600_NS6detail15normal_iteratorINSC_10device_ptrIKiEEEENSE_INSF_IKfEEEEEEEEESN_NSA_INS5_IJNSE_INSF_IiEEEENSE_INSF_IfEEEEEEEEEPS7_SU_SU_NSC_11hip_rocprim7__merge17predicate_wrapperIifNSC_4lessIiEEEEEE10hipError_tPvRmT0_T1_T2_T3_T4_T5_mmT6_P12ihipStream_tbEUlT_E_NS1_11comp_targetILNS1_3genE10ELNS1_11target_archE1200ELNS1_3gpuE4ELNS1_3repE0EEENS1_30default_config_static_selectorELNS0_4arch9wavefront6targetE0EEEvS15_.uses_flat_scratch, 0
	.set _ZN7rocprim17ROCPRIM_400000_NS6detail17trampoline_kernelINS0_14default_configENS1_21merge_config_selectorINS0_5tupleIJifEEENS0_10empty_typeEEEZNS1_10merge_implIS3_NS0_12zip_iteratorINS5_IJN6thrust23THRUST_200600_302600_NS6detail15normal_iteratorINSC_10device_ptrIKiEEEENSE_INSF_IKfEEEEEEEEESN_NSA_INS5_IJNSE_INSF_IiEEEENSE_INSF_IfEEEEEEEEEPS7_SU_SU_NSC_11hip_rocprim7__merge17predicate_wrapperIifNSC_4lessIiEEEEEE10hipError_tPvRmT0_T1_T2_T3_T4_T5_mmT6_P12ihipStream_tbEUlT_E_NS1_11comp_targetILNS1_3genE10ELNS1_11target_archE1200ELNS1_3gpuE4ELNS1_3repE0EEENS1_30default_config_static_selectorELNS0_4arch9wavefront6targetE0EEEvS15_.has_dyn_sized_stack, 0
	.set _ZN7rocprim17ROCPRIM_400000_NS6detail17trampoline_kernelINS0_14default_configENS1_21merge_config_selectorINS0_5tupleIJifEEENS0_10empty_typeEEEZNS1_10merge_implIS3_NS0_12zip_iteratorINS5_IJN6thrust23THRUST_200600_302600_NS6detail15normal_iteratorINSC_10device_ptrIKiEEEENSE_INSF_IKfEEEEEEEEESN_NSA_INS5_IJNSE_INSF_IiEEEENSE_INSF_IfEEEEEEEEEPS7_SU_SU_NSC_11hip_rocprim7__merge17predicate_wrapperIifNSC_4lessIiEEEEEE10hipError_tPvRmT0_T1_T2_T3_T4_T5_mmT6_P12ihipStream_tbEUlT_E_NS1_11comp_targetILNS1_3genE10ELNS1_11target_archE1200ELNS1_3gpuE4ELNS1_3repE0EEENS1_30default_config_static_selectorELNS0_4arch9wavefront6targetE0EEEvS15_.has_recursion, 0
	.set _ZN7rocprim17ROCPRIM_400000_NS6detail17trampoline_kernelINS0_14default_configENS1_21merge_config_selectorINS0_5tupleIJifEEENS0_10empty_typeEEEZNS1_10merge_implIS3_NS0_12zip_iteratorINS5_IJN6thrust23THRUST_200600_302600_NS6detail15normal_iteratorINSC_10device_ptrIKiEEEENSE_INSF_IKfEEEEEEEEESN_NSA_INS5_IJNSE_INSF_IiEEEENSE_INSF_IfEEEEEEEEEPS7_SU_SU_NSC_11hip_rocprim7__merge17predicate_wrapperIifNSC_4lessIiEEEEEE10hipError_tPvRmT0_T1_T2_T3_T4_T5_mmT6_P12ihipStream_tbEUlT_E_NS1_11comp_targetILNS1_3genE10ELNS1_11target_archE1200ELNS1_3gpuE4ELNS1_3repE0EEENS1_30default_config_static_selectorELNS0_4arch9wavefront6targetE0EEEvS15_.has_indirect_call, 0
	.section	.AMDGPU.csdata,"",@progbits
; Kernel info:
; codeLenInByte = 0
; TotalNumSgprs: 0
; NumVgprs: 0
; ScratchSize: 0
; MemoryBound: 0
; FloatMode: 240
; IeeeMode: 1
; LDSByteSize: 0 bytes/workgroup (compile time only)
; SGPRBlocks: 0
; VGPRBlocks: 0
; NumSGPRsForWavesPerEU: 1
; NumVGPRsForWavesPerEU: 1
; Occupancy: 16
; WaveLimiterHint : 0
; COMPUTE_PGM_RSRC2:SCRATCH_EN: 0
; COMPUTE_PGM_RSRC2:USER_SGPR: 6
; COMPUTE_PGM_RSRC2:TRAP_HANDLER: 0
; COMPUTE_PGM_RSRC2:TGID_X_EN: 1
; COMPUTE_PGM_RSRC2:TGID_Y_EN: 0
; COMPUTE_PGM_RSRC2:TGID_Z_EN: 0
; COMPUTE_PGM_RSRC2:TIDIG_COMP_CNT: 0
	.section	.text._ZN7rocprim17ROCPRIM_400000_NS6detail17trampoline_kernelINS0_14default_configENS1_21merge_config_selectorINS0_5tupleIJifEEENS0_10empty_typeEEEZNS1_10merge_implIS3_NS0_12zip_iteratorINS5_IJN6thrust23THRUST_200600_302600_NS6detail15normal_iteratorINSC_10device_ptrIKiEEEENSE_INSF_IKfEEEEEEEEESN_NSA_INS5_IJNSE_INSF_IiEEEENSE_INSF_IfEEEEEEEEEPS7_SU_SU_NSC_11hip_rocprim7__merge17predicate_wrapperIifNSC_4lessIiEEEEEE10hipError_tPvRmT0_T1_T2_T3_T4_T5_mmT6_P12ihipStream_tbEUlT_E_NS1_11comp_targetILNS1_3genE9ELNS1_11target_archE1100ELNS1_3gpuE3ELNS1_3repE0EEENS1_30default_config_static_selectorELNS0_4arch9wavefront6targetE0EEEvS15_,"axG",@progbits,_ZN7rocprim17ROCPRIM_400000_NS6detail17trampoline_kernelINS0_14default_configENS1_21merge_config_selectorINS0_5tupleIJifEEENS0_10empty_typeEEEZNS1_10merge_implIS3_NS0_12zip_iteratorINS5_IJN6thrust23THRUST_200600_302600_NS6detail15normal_iteratorINSC_10device_ptrIKiEEEENSE_INSF_IKfEEEEEEEEESN_NSA_INS5_IJNSE_INSF_IiEEEENSE_INSF_IfEEEEEEEEEPS7_SU_SU_NSC_11hip_rocprim7__merge17predicate_wrapperIifNSC_4lessIiEEEEEE10hipError_tPvRmT0_T1_T2_T3_T4_T5_mmT6_P12ihipStream_tbEUlT_E_NS1_11comp_targetILNS1_3genE9ELNS1_11target_archE1100ELNS1_3gpuE3ELNS1_3repE0EEENS1_30default_config_static_selectorELNS0_4arch9wavefront6targetE0EEEvS15_,comdat
	.protected	_ZN7rocprim17ROCPRIM_400000_NS6detail17trampoline_kernelINS0_14default_configENS1_21merge_config_selectorINS0_5tupleIJifEEENS0_10empty_typeEEEZNS1_10merge_implIS3_NS0_12zip_iteratorINS5_IJN6thrust23THRUST_200600_302600_NS6detail15normal_iteratorINSC_10device_ptrIKiEEEENSE_INSF_IKfEEEEEEEEESN_NSA_INS5_IJNSE_INSF_IiEEEENSE_INSF_IfEEEEEEEEEPS7_SU_SU_NSC_11hip_rocprim7__merge17predicate_wrapperIifNSC_4lessIiEEEEEE10hipError_tPvRmT0_T1_T2_T3_T4_T5_mmT6_P12ihipStream_tbEUlT_E_NS1_11comp_targetILNS1_3genE9ELNS1_11target_archE1100ELNS1_3gpuE3ELNS1_3repE0EEENS1_30default_config_static_selectorELNS0_4arch9wavefront6targetE0EEEvS15_ ; -- Begin function _ZN7rocprim17ROCPRIM_400000_NS6detail17trampoline_kernelINS0_14default_configENS1_21merge_config_selectorINS0_5tupleIJifEEENS0_10empty_typeEEEZNS1_10merge_implIS3_NS0_12zip_iteratorINS5_IJN6thrust23THRUST_200600_302600_NS6detail15normal_iteratorINSC_10device_ptrIKiEEEENSE_INSF_IKfEEEEEEEEESN_NSA_INS5_IJNSE_INSF_IiEEEENSE_INSF_IfEEEEEEEEEPS7_SU_SU_NSC_11hip_rocprim7__merge17predicate_wrapperIifNSC_4lessIiEEEEEE10hipError_tPvRmT0_T1_T2_T3_T4_T5_mmT6_P12ihipStream_tbEUlT_E_NS1_11comp_targetILNS1_3genE9ELNS1_11target_archE1100ELNS1_3gpuE3ELNS1_3repE0EEENS1_30default_config_static_selectorELNS0_4arch9wavefront6targetE0EEEvS15_
	.globl	_ZN7rocprim17ROCPRIM_400000_NS6detail17trampoline_kernelINS0_14default_configENS1_21merge_config_selectorINS0_5tupleIJifEEENS0_10empty_typeEEEZNS1_10merge_implIS3_NS0_12zip_iteratorINS5_IJN6thrust23THRUST_200600_302600_NS6detail15normal_iteratorINSC_10device_ptrIKiEEEENSE_INSF_IKfEEEEEEEEESN_NSA_INS5_IJNSE_INSF_IiEEEENSE_INSF_IfEEEEEEEEEPS7_SU_SU_NSC_11hip_rocprim7__merge17predicate_wrapperIifNSC_4lessIiEEEEEE10hipError_tPvRmT0_T1_T2_T3_T4_T5_mmT6_P12ihipStream_tbEUlT_E_NS1_11comp_targetILNS1_3genE9ELNS1_11target_archE1100ELNS1_3gpuE3ELNS1_3repE0EEENS1_30default_config_static_selectorELNS0_4arch9wavefront6targetE0EEEvS15_
	.p2align	8
	.type	_ZN7rocprim17ROCPRIM_400000_NS6detail17trampoline_kernelINS0_14default_configENS1_21merge_config_selectorINS0_5tupleIJifEEENS0_10empty_typeEEEZNS1_10merge_implIS3_NS0_12zip_iteratorINS5_IJN6thrust23THRUST_200600_302600_NS6detail15normal_iteratorINSC_10device_ptrIKiEEEENSE_INSF_IKfEEEEEEEEESN_NSA_INS5_IJNSE_INSF_IiEEEENSE_INSF_IfEEEEEEEEEPS7_SU_SU_NSC_11hip_rocprim7__merge17predicate_wrapperIifNSC_4lessIiEEEEEE10hipError_tPvRmT0_T1_T2_T3_T4_T5_mmT6_P12ihipStream_tbEUlT_E_NS1_11comp_targetILNS1_3genE9ELNS1_11target_archE1100ELNS1_3gpuE3ELNS1_3repE0EEENS1_30default_config_static_selectorELNS0_4arch9wavefront6targetE0EEEvS15_,@function
_ZN7rocprim17ROCPRIM_400000_NS6detail17trampoline_kernelINS0_14default_configENS1_21merge_config_selectorINS0_5tupleIJifEEENS0_10empty_typeEEEZNS1_10merge_implIS3_NS0_12zip_iteratorINS5_IJN6thrust23THRUST_200600_302600_NS6detail15normal_iteratorINSC_10device_ptrIKiEEEENSE_INSF_IKfEEEEEEEEESN_NSA_INS5_IJNSE_INSF_IiEEEENSE_INSF_IfEEEEEEEEEPS7_SU_SU_NSC_11hip_rocprim7__merge17predicate_wrapperIifNSC_4lessIiEEEEEE10hipError_tPvRmT0_T1_T2_T3_T4_T5_mmT6_P12ihipStream_tbEUlT_E_NS1_11comp_targetILNS1_3genE9ELNS1_11target_archE1100ELNS1_3gpuE3ELNS1_3repE0EEENS1_30default_config_static_selectorELNS0_4arch9wavefront6targetE0EEEvS15_: ; @_ZN7rocprim17ROCPRIM_400000_NS6detail17trampoline_kernelINS0_14default_configENS1_21merge_config_selectorINS0_5tupleIJifEEENS0_10empty_typeEEEZNS1_10merge_implIS3_NS0_12zip_iteratorINS5_IJN6thrust23THRUST_200600_302600_NS6detail15normal_iteratorINSC_10device_ptrIKiEEEENSE_INSF_IKfEEEEEEEEESN_NSA_INS5_IJNSE_INSF_IiEEEENSE_INSF_IfEEEEEEEEEPS7_SU_SU_NSC_11hip_rocprim7__merge17predicate_wrapperIifNSC_4lessIiEEEEEE10hipError_tPvRmT0_T1_T2_T3_T4_T5_mmT6_P12ihipStream_tbEUlT_E_NS1_11comp_targetILNS1_3genE9ELNS1_11target_archE1100ELNS1_3gpuE3ELNS1_3repE0EEENS1_30default_config_static_selectorELNS0_4arch9wavefront6targetE0EEEvS15_
; %bb.0:
	.section	.rodata,"a",@progbits
	.p2align	6, 0x0
	.amdhsa_kernel _ZN7rocprim17ROCPRIM_400000_NS6detail17trampoline_kernelINS0_14default_configENS1_21merge_config_selectorINS0_5tupleIJifEEENS0_10empty_typeEEEZNS1_10merge_implIS3_NS0_12zip_iteratorINS5_IJN6thrust23THRUST_200600_302600_NS6detail15normal_iteratorINSC_10device_ptrIKiEEEENSE_INSF_IKfEEEEEEEEESN_NSA_INS5_IJNSE_INSF_IiEEEENSE_INSF_IfEEEEEEEEEPS7_SU_SU_NSC_11hip_rocprim7__merge17predicate_wrapperIifNSC_4lessIiEEEEEE10hipError_tPvRmT0_T1_T2_T3_T4_T5_mmT6_P12ihipStream_tbEUlT_E_NS1_11comp_targetILNS1_3genE9ELNS1_11target_archE1100ELNS1_3gpuE3ELNS1_3repE0EEENS1_30default_config_static_selectorELNS0_4arch9wavefront6targetE0EEEvS15_
		.amdhsa_group_segment_fixed_size 0
		.amdhsa_private_segment_fixed_size 0
		.amdhsa_kernarg_size 64
		.amdhsa_user_sgpr_count 6
		.amdhsa_user_sgpr_private_segment_buffer 1
		.amdhsa_user_sgpr_dispatch_ptr 0
		.amdhsa_user_sgpr_queue_ptr 0
		.amdhsa_user_sgpr_kernarg_segment_ptr 1
		.amdhsa_user_sgpr_dispatch_id 0
		.amdhsa_user_sgpr_flat_scratch_init 0
		.amdhsa_user_sgpr_private_segment_size 0
		.amdhsa_wavefront_size32 1
		.amdhsa_uses_dynamic_stack 0
		.amdhsa_system_sgpr_private_segment_wavefront_offset 0
		.amdhsa_system_sgpr_workgroup_id_x 1
		.amdhsa_system_sgpr_workgroup_id_y 0
		.amdhsa_system_sgpr_workgroup_id_z 0
		.amdhsa_system_sgpr_workgroup_info 0
		.amdhsa_system_vgpr_workitem_id 0
		.amdhsa_next_free_vgpr 1
		.amdhsa_next_free_sgpr 1
		.amdhsa_reserve_vcc 0
		.amdhsa_reserve_flat_scratch 0
		.amdhsa_float_round_mode_32 0
		.amdhsa_float_round_mode_16_64 0
		.amdhsa_float_denorm_mode_32 3
		.amdhsa_float_denorm_mode_16_64 3
		.amdhsa_dx10_clamp 1
		.amdhsa_ieee_mode 1
		.amdhsa_fp16_overflow 0
		.amdhsa_workgroup_processor_mode 1
		.amdhsa_memory_ordered 1
		.amdhsa_forward_progress 1
		.amdhsa_shared_vgpr_count 0
		.amdhsa_exception_fp_ieee_invalid_op 0
		.amdhsa_exception_fp_denorm_src 0
		.amdhsa_exception_fp_ieee_div_zero 0
		.amdhsa_exception_fp_ieee_overflow 0
		.amdhsa_exception_fp_ieee_underflow 0
		.amdhsa_exception_fp_ieee_inexact 0
		.amdhsa_exception_int_div_zero 0
	.end_amdhsa_kernel
	.section	.text._ZN7rocprim17ROCPRIM_400000_NS6detail17trampoline_kernelINS0_14default_configENS1_21merge_config_selectorINS0_5tupleIJifEEENS0_10empty_typeEEEZNS1_10merge_implIS3_NS0_12zip_iteratorINS5_IJN6thrust23THRUST_200600_302600_NS6detail15normal_iteratorINSC_10device_ptrIKiEEEENSE_INSF_IKfEEEEEEEEESN_NSA_INS5_IJNSE_INSF_IiEEEENSE_INSF_IfEEEEEEEEEPS7_SU_SU_NSC_11hip_rocprim7__merge17predicate_wrapperIifNSC_4lessIiEEEEEE10hipError_tPvRmT0_T1_T2_T3_T4_T5_mmT6_P12ihipStream_tbEUlT_E_NS1_11comp_targetILNS1_3genE9ELNS1_11target_archE1100ELNS1_3gpuE3ELNS1_3repE0EEENS1_30default_config_static_selectorELNS0_4arch9wavefront6targetE0EEEvS15_,"axG",@progbits,_ZN7rocprim17ROCPRIM_400000_NS6detail17trampoline_kernelINS0_14default_configENS1_21merge_config_selectorINS0_5tupleIJifEEENS0_10empty_typeEEEZNS1_10merge_implIS3_NS0_12zip_iteratorINS5_IJN6thrust23THRUST_200600_302600_NS6detail15normal_iteratorINSC_10device_ptrIKiEEEENSE_INSF_IKfEEEEEEEEESN_NSA_INS5_IJNSE_INSF_IiEEEENSE_INSF_IfEEEEEEEEEPS7_SU_SU_NSC_11hip_rocprim7__merge17predicate_wrapperIifNSC_4lessIiEEEEEE10hipError_tPvRmT0_T1_T2_T3_T4_T5_mmT6_P12ihipStream_tbEUlT_E_NS1_11comp_targetILNS1_3genE9ELNS1_11target_archE1100ELNS1_3gpuE3ELNS1_3repE0EEENS1_30default_config_static_selectorELNS0_4arch9wavefront6targetE0EEEvS15_,comdat
.Lfunc_end9:
	.size	_ZN7rocprim17ROCPRIM_400000_NS6detail17trampoline_kernelINS0_14default_configENS1_21merge_config_selectorINS0_5tupleIJifEEENS0_10empty_typeEEEZNS1_10merge_implIS3_NS0_12zip_iteratorINS5_IJN6thrust23THRUST_200600_302600_NS6detail15normal_iteratorINSC_10device_ptrIKiEEEENSE_INSF_IKfEEEEEEEEESN_NSA_INS5_IJNSE_INSF_IiEEEENSE_INSF_IfEEEEEEEEEPS7_SU_SU_NSC_11hip_rocprim7__merge17predicate_wrapperIifNSC_4lessIiEEEEEE10hipError_tPvRmT0_T1_T2_T3_T4_T5_mmT6_P12ihipStream_tbEUlT_E_NS1_11comp_targetILNS1_3genE9ELNS1_11target_archE1100ELNS1_3gpuE3ELNS1_3repE0EEENS1_30default_config_static_selectorELNS0_4arch9wavefront6targetE0EEEvS15_, .Lfunc_end9-_ZN7rocprim17ROCPRIM_400000_NS6detail17trampoline_kernelINS0_14default_configENS1_21merge_config_selectorINS0_5tupleIJifEEENS0_10empty_typeEEEZNS1_10merge_implIS3_NS0_12zip_iteratorINS5_IJN6thrust23THRUST_200600_302600_NS6detail15normal_iteratorINSC_10device_ptrIKiEEEENSE_INSF_IKfEEEEEEEEESN_NSA_INS5_IJNSE_INSF_IiEEEENSE_INSF_IfEEEEEEEEEPS7_SU_SU_NSC_11hip_rocprim7__merge17predicate_wrapperIifNSC_4lessIiEEEEEE10hipError_tPvRmT0_T1_T2_T3_T4_T5_mmT6_P12ihipStream_tbEUlT_E_NS1_11comp_targetILNS1_3genE9ELNS1_11target_archE1100ELNS1_3gpuE3ELNS1_3repE0EEENS1_30default_config_static_selectorELNS0_4arch9wavefront6targetE0EEEvS15_
                                        ; -- End function
	.set _ZN7rocprim17ROCPRIM_400000_NS6detail17trampoline_kernelINS0_14default_configENS1_21merge_config_selectorINS0_5tupleIJifEEENS0_10empty_typeEEEZNS1_10merge_implIS3_NS0_12zip_iteratorINS5_IJN6thrust23THRUST_200600_302600_NS6detail15normal_iteratorINSC_10device_ptrIKiEEEENSE_INSF_IKfEEEEEEEEESN_NSA_INS5_IJNSE_INSF_IiEEEENSE_INSF_IfEEEEEEEEEPS7_SU_SU_NSC_11hip_rocprim7__merge17predicate_wrapperIifNSC_4lessIiEEEEEE10hipError_tPvRmT0_T1_T2_T3_T4_T5_mmT6_P12ihipStream_tbEUlT_E_NS1_11comp_targetILNS1_3genE9ELNS1_11target_archE1100ELNS1_3gpuE3ELNS1_3repE0EEENS1_30default_config_static_selectorELNS0_4arch9wavefront6targetE0EEEvS15_.num_vgpr, 0
	.set _ZN7rocprim17ROCPRIM_400000_NS6detail17trampoline_kernelINS0_14default_configENS1_21merge_config_selectorINS0_5tupleIJifEEENS0_10empty_typeEEEZNS1_10merge_implIS3_NS0_12zip_iteratorINS5_IJN6thrust23THRUST_200600_302600_NS6detail15normal_iteratorINSC_10device_ptrIKiEEEENSE_INSF_IKfEEEEEEEEESN_NSA_INS5_IJNSE_INSF_IiEEEENSE_INSF_IfEEEEEEEEEPS7_SU_SU_NSC_11hip_rocprim7__merge17predicate_wrapperIifNSC_4lessIiEEEEEE10hipError_tPvRmT0_T1_T2_T3_T4_T5_mmT6_P12ihipStream_tbEUlT_E_NS1_11comp_targetILNS1_3genE9ELNS1_11target_archE1100ELNS1_3gpuE3ELNS1_3repE0EEENS1_30default_config_static_selectorELNS0_4arch9wavefront6targetE0EEEvS15_.num_agpr, 0
	.set _ZN7rocprim17ROCPRIM_400000_NS6detail17trampoline_kernelINS0_14default_configENS1_21merge_config_selectorINS0_5tupleIJifEEENS0_10empty_typeEEEZNS1_10merge_implIS3_NS0_12zip_iteratorINS5_IJN6thrust23THRUST_200600_302600_NS6detail15normal_iteratorINSC_10device_ptrIKiEEEENSE_INSF_IKfEEEEEEEEESN_NSA_INS5_IJNSE_INSF_IiEEEENSE_INSF_IfEEEEEEEEEPS7_SU_SU_NSC_11hip_rocprim7__merge17predicate_wrapperIifNSC_4lessIiEEEEEE10hipError_tPvRmT0_T1_T2_T3_T4_T5_mmT6_P12ihipStream_tbEUlT_E_NS1_11comp_targetILNS1_3genE9ELNS1_11target_archE1100ELNS1_3gpuE3ELNS1_3repE0EEENS1_30default_config_static_selectorELNS0_4arch9wavefront6targetE0EEEvS15_.numbered_sgpr, 0
	.set _ZN7rocprim17ROCPRIM_400000_NS6detail17trampoline_kernelINS0_14default_configENS1_21merge_config_selectorINS0_5tupleIJifEEENS0_10empty_typeEEEZNS1_10merge_implIS3_NS0_12zip_iteratorINS5_IJN6thrust23THRUST_200600_302600_NS6detail15normal_iteratorINSC_10device_ptrIKiEEEENSE_INSF_IKfEEEEEEEEESN_NSA_INS5_IJNSE_INSF_IiEEEENSE_INSF_IfEEEEEEEEEPS7_SU_SU_NSC_11hip_rocprim7__merge17predicate_wrapperIifNSC_4lessIiEEEEEE10hipError_tPvRmT0_T1_T2_T3_T4_T5_mmT6_P12ihipStream_tbEUlT_E_NS1_11comp_targetILNS1_3genE9ELNS1_11target_archE1100ELNS1_3gpuE3ELNS1_3repE0EEENS1_30default_config_static_selectorELNS0_4arch9wavefront6targetE0EEEvS15_.num_named_barrier, 0
	.set _ZN7rocprim17ROCPRIM_400000_NS6detail17trampoline_kernelINS0_14default_configENS1_21merge_config_selectorINS0_5tupleIJifEEENS0_10empty_typeEEEZNS1_10merge_implIS3_NS0_12zip_iteratorINS5_IJN6thrust23THRUST_200600_302600_NS6detail15normal_iteratorINSC_10device_ptrIKiEEEENSE_INSF_IKfEEEEEEEEESN_NSA_INS5_IJNSE_INSF_IiEEEENSE_INSF_IfEEEEEEEEEPS7_SU_SU_NSC_11hip_rocprim7__merge17predicate_wrapperIifNSC_4lessIiEEEEEE10hipError_tPvRmT0_T1_T2_T3_T4_T5_mmT6_P12ihipStream_tbEUlT_E_NS1_11comp_targetILNS1_3genE9ELNS1_11target_archE1100ELNS1_3gpuE3ELNS1_3repE0EEENS1_30default_config_static_selectorELNS0_4arch9wavefront6targetE0EEEvS15_.private_seg_size, 0
	.set _ZN7rocprim17ROCPRIM_400000_NS6detail17trampoline_kernelINS0_14default_configENS1_21merge_config_selectorINS0_5tupleIJifEEENS0_10empty_typeEEEZNS1_10merge_implIS3_NS0_12zip_iteratorINS5_IJN6thrust23THRUST_200600_302600_NS6detail15normal_iteratorINSC_10device_ptrIKiEEEENSE_INSF_IKfEEEEEEEEESN_NSA_INS5_IJNSE_INSF_IiEEEENSE_INSF_IfEEEEEEEEEPS7_SU_SU_NSC_11hip_rocprim7__merge17predicate_wrapperIifNSC_4lessIiEEEEEE10hipError_tPvRmT0_T1_T2_T3_T4_T5_mmT6_P12ihipStream_tbEUlT_E_NS1_11comp_targetILNS1_3genE9ELNS1_11target_archE1100ELNS1_3gpuE3ELNS1_3repE0EEENS1_30default_config_static_selectorELNS0_4arch9wavefront6targetE0EEEvS15_.uses_vcc, 0
	.set _ZN7rocprim17ROCPRIM_400000_NS6detail17trampoline_kernelINS0_14default_configENS1_21merge_config_selectorINS0_5tupleIJifEEENS0_10empty_typeEEEZNS1_10merge_implIS3_NS0_12zip_iteratorINS5_IJN6thrust23THRUST_200600_302600_NS6detail15normal_iteratorINSC_10device_ptrIKiEEEENSE_INSF_IKfEEEEEEEEESN_NSA_INS5_IJNSE_INSF_IiEEEENSE_INSF_IfEEEEEEEEEPS7_SU_SU_NSC_11hip_rocprim7__merge17predicate_wrapperIifNSC_4lessIiEEEEEE10hipError_tPvRmT0_T1_T2_T3_T4_T5_mmT6_P12ihipStream_tbEUlT_E_NS1_11comp_targetILNS1_3genE9ELNS1_11target_archE1100ELNS1_3gpuE3ELNS1_3repE0EEENS1_30default_config_static_selectorELNS0_4arch9wavefront6targetE0EEEvS15_.uses_flat_scratch, 0
	.set _ZN7rocprim17ROCPRIM_400000_NS6detail17trampoline_kernelINS0_14default_configENS1_21merge_config_selectorINS0_5tupleIJifEEENS0_10empty_typeEEEZNS1_10merge_implIS3_NS0_12zip_iteratorINS5_IJN6thrust23THRUST_200600_302600_NS6detail15normal_iteratorINSC_10device_ptrIKiEEEENSE_INSF_IKfEEEEEEEEESN_NSA_INS5_IJNSE_INSF_IiEEEENSE_INSF_IfEEEEEEEEEPS7_SU_SU_NSC_11hip_rocprim7__merge17predicate_wrapperIifNSC_4lessIiEEEEEE10hipError_tPvRmT0_T1_T2_T3_T4_T5_mmT6_P12ihipStream_tbEUlT_E_NS1_11comp_targetILNS1_3genE9ELNS1_11target_archE1100ELNS1_3gpuE3ELNS1_3repE0EEENS1_30default_config_static_selectorELNS0_4arch9wavefront6targetE0EEEvS15_.has_dyn_sized_stack, 0
	.set _ZN7rocprim17ROCPRIM_400000_NS6detail17trampoline_kernelINS0_14default_configENS1_21merge_config_selectorINS0_5tupleIJifEEENS0_10empty_typeEEEZNS1_10merge_implIS3_NS0_12zip_iteratorINS5_IJN6thrust23THRUST_200600_302600_NS6detail15normal_iteratorINSC_10device_ptrIKiEEEENSE_INSF_IKfEEEEEEEEESN_NSA_INS5_IJNSE_INSF_IiEEEENSE_INSF_IfEEEEEEEEEPS7_SU_SU_NSC_11hip_rocprim7__merge17predicate_wrapperIifNSC_4lessIiEEEEEE10hipError_tPvRmT0_T1_T2_T3_T4_T5_mmT6_P12ihipStream_tbEUlT_E_NS1_11comp_targetILNS1_3genE9ELNS1_11target_archE1100ELNS1_3gpuE3ELNS1_3repE0EEENS1_30default_config_static_selectorELNS0_4arch9wavefront6targetE0EEEvS15_.has_recursion, 0
	.set _ZN7rocprim17ROCPRIM_400000_NS6detail17trampoline_kernelINS0_14default_configENS1_21merge_config_selectorINS0_5tupleIJifEEENS0_10empty_typeEEEZNS1_10merge_implIS3_NS0_12zip_iteratorINS5_IJN6thrust23THRUST_200600_302600_NS6detail15normal_iteratorINSC_10device_ptrIKiEEEENSE_INSF_IKfEEEEEEEEESN_NSA_INS5_IJNSE_INSF_IiEEEENSE_INSF_IfEEEEEEEEEPS7_SU_SU_NSC_11hip_rocprim7__merge17predicate_wrapperIifNSC_4lessIiEEEEEE10hipError_tPvRmT0_T1_T2_T3_T4_T5_mmT6_P12ihipStream_tbEUlT_E_NS1_11comp_targetILNS1_3genE9ELNS1_11target_archE1100ELNS1_3gpuE3ELNS1_3repE0EEENS1_30default_config_static_selectorELNS0_4arch9wavefront6targetE0EEEvS15_.has_indirect_call, 0
	.section	.AMDGPU.csdata,"",@progbits
; Kernel info:
; codeLenInByte = 0
; TotalNumSgprs: 0
; NumVgprs: 0
; ScratchSize: 0
; MemoryBound: 0
; FloatMode: 240
; IeeeMode: 1
; LDSByteSize: 0 bytes/workgroup (compile time only)
; SGPRBlocks: 0
; VGPRBlocks: 0
; NumSGPRsForWavesPerEU: 1
; NumVGPRsForWavesPerEU: 1
; Occupancy: 16
; WaveLimiterHint : 0
; COMPUTE_PGM_RSRC2:SCRATCH_EN: 0
; COMPUTE_PGM_RSRC2:USER_SGPR: 6
; COMPUTE_PGM_RSRC2:TRAP_HANDLER: 0
; COMPUTE_PGM_RSRC2:TGID_X_EN: 1
; COMPUTE_PGM_RSRC2:TGID_Y_EN: 0
; COMPUTE_PGM_RSRC2:TGID_Z_EN: 0
; COMPUTE_PGM_RSRC2:TIDIG_COMP_CNT: 0
	.section	.text._ZN7rocprim17ROCPRIM_400000_NS6detail17trampoline_kernelINS0_14default_configENS1_21merge_config_selectorINS0_5tupleIJifEEENS0_10empty_typeEEEZNS1_10merge_implIS3_NS0_12zip_iteratorINS5_IJN6thrust23THRUST_200600_302600_NS6detail15normal_iteratorINSC_10device_ptrIKiEEEENSE_INSF_IKfEEEEEEEEESN_NSA_INS5_IJNSE_INSF_IiEEEENSE_INSF_IfEEEEEEEEEPS7_SU_SU_NSC_11hip_rocprim7__merge17predicate_wrapperIifNSC_4lessIiEEEEEE10hipError_tPvRmT0_T1_T2_T3_T4_T5_mmT6_P12ihipStream_tbEUlT_E_NS1_11comp_targetILNS1_3genE8ELNS1_11target_archE1030ELNS1_3gpuE2ELNS1_3repE0EEENS1_30default_config_static_selectorELNS0_4arch9wavefront6targetE0EEEvS15_,"axG",@progbits,_ZN7rocprim17ROCPRIM_400000_NS6detail17trampoline_kernelINS0_14default_configENS1_21merge_config_selectorINS0_5tupleIJifEEENS0_10empty_typeEEEZNS1_10merge_implIS3_NS0_12zip_iteratorINS5_IJN6thrust23THRUST_200600_302600_NS6detail15normal_iteratorINSC_10device_ptrIKiEEEENSE_INSF_IKfEEEEEEEEESN_NSA_INS5_IJNSE_INSF_IiEEEENSE_INSF_IfEEEEEEEEEPS7_SU_SU_NSC_11hip_rocprim7__merge17predicate_wrapperIifNSC_4lessIiEEEEEE10hipError_tPvRmT0_T1_T2_T3_T4_T5_mmT6_P12ihipStream_tbEUlT_E_NS1_11comp_targetILNS1_3genE8ELNS1_11target_archE1030ELNS1_3gpuE2ELNS1_3repE0EEENS1_30default_config_static_selectorELNS0_4arch9wavefront6targetE0EEEvS15_,comdat
	.protected	_ZN7rocprim17ROCPRIM_400000_NS6detail17trampoline_kernelINS0_14default_configENS1_21merge_config_selectorINS0_5tupleIJifEEENS0_10empty_typeEEEZNS1_10merge_implIS3_NS0_12zip_iteratorINS5_IJN6thrust23THRUST_200600_302600_NS6detail15normal_iteratorINSC_10device_ptrIKiEEEENSE_INSF_IKfEEEEEEEEESN_NSA_INS5_IJNSE_INSF_IiEEEENSE_INSF_IfEEEEEEEEEPS7_SU_SU_NSC_11hip_rocprim7__merge17predicate_wrapperIifNSC_4lessIiEEEEEE10hipError_tPvRmT0_T1_T2_T3_T4_T5_mmT6_P12ihipStream_tbEUlT_E_NS1_11comp_targetILNS1_3genE8ELNS1_11target_archE1030ELNS1_3gpuE2ELNS1_3repE0EEENS1_30default_config_static_selectorELNS0_4arch9wavefront6targetE0EEEvS15_ ; -- Begin function _ZN7rocprim17ROCPRIM_400000_NS6detail17trampoline_kernelINS0_14default_configENS1_21merge_config_selectorINS0_5tupleIJifEEENS0_10empty_typeEEEZNS1_10merge_implIS3_NS0_12zip_iteratorINS5_IJN6thrust23THRUST_200600_302600_NS6detail15normal_iteratorINSC_10device_ptrIKiEEEENSE_INSF_IKfEEEEEEEEESN_NSA_INS5_IJNSE_INSF_IiEEEENSE_INSF_IfEEEEEEEEEPS7_SU_SU_NSC_11hip_rocprim7__merge17predicate_wrapperIifNSC_4lessIiEEEEEE10hipError_tPvRmT0_T1_T2_T3_T4_T5_mmT6_P12ihipStream_tbEUlT_E_NS1_11comp_targetILNS1_3genE8ELNS1_11target_archE1030ELNS1_3gpuE2ELNS1_3repE0EEENS1_30default_config_static_selectorELNS0_4arch9wavefront6targetE0EEEvS15_
	.globl	_ZN7rocprim17ROCPRIM_400000_NS6detail17trampoline_kernelINS0_14default_configENS1_21merge_config_selectorINS0_5tupleIJifEEENS0_10empty_typeEEEZNS1_10merge_implIS3_NS0_12zip_iteratorINS5_IJN6thrust23THRUST_200600_302600_NS6detail15normal_iteratorINSC_10device_ptrIKiEEEENSE_INSF_IKfEEEEEEEEESN_NSA_INS5_IJNSE_INSF_IiEEEENSE_INSF_IfEEEEEEEEEPS7_SU_SU_NSC_11hip_rocprim7__merge17predicate_wrapperIifNSC_4lessIiEEEEEE10hipError_tPvRmT0_T1_T2_T3_T4_T5_mmT6_P12ihipStream_tbEUlT_E_NS1_11comp_targetILNS1_3genE8ELNS1_11target_archE1030ELNS1_3gpuE2ELNS1_3repE0EEENS1_30default_config_static_selectorELNS0_4arch9wavefront6targetE0EEEvS15_
	.p2align	8
	.type	_ZN7rocprim17ROCPRIM_400000_NS6detail17trampoline_kernelINS0_14default_configENS1_21merge_config_selectorINS0_5tupleIJifEEENS0_10empty_typeEEEZNS1_10merge_implIS3_NS0_12zip_iteratorINS5_IJN6thrust23THRUST_200600_302600_NS6detail15normal_iteratorINSC_10device_ptrIKiEEEENSE_INSF_IKfEEEEEEEEESN_NSA_INS5_IJNSE_INSF_IiEEEENSE_INSF_IfEEEEEEEEEPS7_SU_SU_NSC_11hip_rocprim7__merge17predicate_wrapperIifNSC_4lessIiEEEEEE10hipError_tPvRmT0_T1_T2_T3_T4_T5_mmT6_P12ihipStream_tbEUlT_E_NS1_11comp_targetILNS1_3genE8ELNS1_11target_archE1030ELNS1_3gpuE2ELNS1_3repE0EEENS1_30default_config_static_selectorELNS0_4arch9wavefront6targetE0EEEvS15_,@function
_ZN7rocprim17ROCPRIM_400000_NS6detail17trampoline_kernelINS0_14default_configENS1_21merge_config_selectorINS0_5tupleIJifEEENS0_10empty_typeEEEZNS1_10merge_implIS3_NS0_12zip_iteratorINS5_IJN6thrust23THRUST_200600_302600_NS6detail15normal_iteratorINSC_10device_ptrIKiEEEENSE_INSF_IKfEEEEEEEEESN_NSA_INS5_IJNSE_INSF_IiEEEENSE_INSF_IfEEEEEEEEEPS7_SU_SU_NSC_11hip_rocprim7__merge17predicate_wrapperIifNSC_4lessIiEEEEEE10hipError_tPvRmT0_T1_T2_T3_T4_T5_mmT6_P12ihipStream_tbEUlT_E_NS1_11comp_targetILNS1_3genE8ELNS1_11target_archE1030ELNS1_3gpuE2ELNS1_3repE0EEENS1_30default_config_static_selectorELNS0_4arch9wavefront6targetE0EEEvS15_: ; @_ZN7rocprim17ROCPRIM_400000_NS6detail17trampoline_kernelINS0_14default_configENS1_21merge_config_selectorINS0_5tupleIJifEEENS0_10empty_typeEEEZNS1_10merge_implIS3_NS0_12zip_iteratorINS5_IJN6thrust23THRUST_200600_302600_NS6detail15normal_iteratorINSC_10device_ptrIKiEEEENSE_INSF_IKfEEEEEEEEESN_NSA_INS5_IJNSE_INSF_IiEEEENSE_INSF_IfEEEEEEEEEPS7_SU_SU_NSC_11hip_rocprim7__merge17predicate_wrapperIifNSC_4lessIiEEEEEE10hipError_tPvRmT0_T1_T2_T3_T4_T5_mmT6_P12ihipStream_tbEUlT_E_NS1_11comp_targetILNS1_3genE8ELNS1_11target_archE1030ELNS1_3gpuE2ELNS1_3repE0EEENS1_30default_config_static_selectorELNS0_4arch9wavefront6targetE0EEEvS15_
; %bb.0:
	s_clause 0x2
	s_load_dword s2, s[4:5], 0x38
	s_load_dword s0, s[4:5], 0x4c
	s_load_dwordx4 s[12:15], s[4:5], 0x28
	s_waitcnt lgkmcnt(0)
	v_cvt_f32_u32_e32 v1, s2
	s_and_b32 s3, s0, 0xffff
	s_add_u32 s0, s14, s12
	s_addc_u32 s1, s15, s13
	s_sub_i32 s8, 0, s2
	v_rcp_iflag_f32_e32 v1, v1
	s_add_i32 s9, s2, s0
	s_add_i32 s9, s9, -1
	v_mul_f32_e32 v1, 0x4f7ffffe, v1
	v_cvt_u32_f32_e32 v1, v1
	v_readfirstlane_b32 s7, v1
	v_mad_u64_u32 v[0:1], null, s6, s3, v[0:1]
	s_mul_i32 s8, s8, s7
	s_mul_hi_u32 s8, s7, s8
	s_add_i32 s7, s7, s8
	s_mul_hi_u32 s7, s9, s7
	s_mul_i32 s8, s7, s2
	s_sub_i32 s8, s9, s8
	s_add_i32 s9, s7, 1
	s_sub_i32 s10, s8, s2
	s_cmp_ge_u32 s8, s2
	s_cselect_b32 s3, s9, s7
	s_cselect_b32 s6, s10, s8
	s_add_i32 s7, s3, 1
	s_cmp_ge_u32 s6, s2
	s_cselect_b32 s3, s7, s3
	v_cmp_ge_u32_e32 vcc_lo, s3, v0
	s_and_saveexec_b32 s3, vcc_lo
	s_cbranch_execz .LBB10_6
; %bb.1:
	v_mul_lo_u32 v1, v0, s2
	v_mov_b32_e32 v2, 0
	s_load_dwordx4 s[8:11], s[4:5], 0x0
	v_cmp_gt_u64_e32 vcc_lo, s[0:1], v[1:2]
	v_cndmask_b32_e32 v6, s0, v1, vcc_lo
	v_cndmask_b32_e64 v7, s1, 0, vcc_lo
	v_sub_co_u32 v1, vcc_lo, v6, s14
	v_subrev_co_ci_u32_e64 v2, null, s15, v7, vcc_lo
	v_cmp_gt_u64_e64 s0, s[12:13], v[6:7]
	v_cmp_gt_u64_e32 vcc_lo, v[1:2], v[6:7]
	v_cndmask_b32_e64 v5, s13, v7, s0
	v_cndmask_b32_e64 v4, s12, v6, s0
	s_mov_b32 s0, exec_lo
	v_cndmask_b32_e64 v3, v2, 0, vcc_lo
	v_cndmask_b32_e64 v2, v1, 0, vcc_lo
	v_cmpx_lt_u64_e64 v[2:3], v[4:5]
	s_cbranch_execz .LBB10_5
; %bb.2:
	s_load_dwordx2 s[2:3], s[4:5], 0x18
	v_lshlrev_b64 v[6:7], 2, v[6:7]
	s_mov_b32 s1, 0
	s_waitcnt lgkmcnt(0)
	v_add_co_u32 v1, vcc_lo, s2, v6
	v_add_co_ci_u32_e64 v6, null, s3, v7, vcc_lo
	s_inst_prefetch 0x1
	.p2align	6
.LBB10_3:                               ; =>This Inner Loop Header: Depth=1
	v_add_co_u32 v7, vcc_lo, v4, v2
	v_add_co_ci_u32_e64 v8, null, v5, v3, vcc_lo
	v_lshrrev_b64 v[7:8], 1, v[7:8]
	v_lshlrev_b64 v[9:10], 2, v[7:8]
	v_xor_b32_e32 v11, -4, v9
	v_xor_b32_e32 v12, -1, v10
	v_add_co_u32 v9, vcc_lo, s10, v9
	v_add_co_ci_u32_e64 v10, null, s11, v10, vcc_lo
	v_add_co_u32 v11, vcc_lo, v1, v11
	v_add_co_ci_u32_e64 v12, null, v6, v12, vcc_lo
	global_load_dword v9, v[9:10], off
	global_load_dword v10, v[11:12], off
	v_add_co_u32 v11, vcc_lo, v7, 1
	v_add_co_ci_u32_e64 v12, null, 0, v8, vcc_lo
	s_waitcnt vmcnt(0)
	v_cmp_lt_i32_e32 vcc_lo, v10, v9
	v_cndmask_b32_e32 v5, v5, v8, vcc_lo
	v_cndmask_b32_e32 v4, v4, v7, vcc_lo
	;; [unrolled: 1-line block ×4, first 2 shown]
	v_cmp_ge_u64_e32 vcc_lo, v[2:3], v[4:5]
	s_or_b32 s1, vcc_lo, s1
	s_andn2_b32 exec_lo, exec_lo, s1
	s_cbranch_execnz .LBB10_3
; %bb.4:
	s_inst_prefetch 0x2
	s_or_b32 exec_lo, exec_lo, s1
.LBB10_5:
	s_or_b32 exec_lo, exec_lo, s0
	v_mov_b32_e32 v1, 0
	v_lshlrev_b64 v[0:1], 2, v[0:1]
	s_waitcnt lgkmcnt(0)
	v_add_co_u32 v0, vcc_lo, s8, v0
	v_add_co_ci_u32_e64 v1, null, s9, v1, vcc_lo
	global_store_dword v[0:1], v2, off
.LBB10_6:
	s_endpgm
	.section	.rodata,"a",@progbits
	.p2align	6, 0x0
	.amdhsa_kernel _ZN7rocprim17ROCPRIM_400000_NS6detail17trampoline_kernelINS0_14default_configENS1_21merge_config_selectorINS0_5tupleIJifEEENS0_10empty_typeEEEZNS1_10merge_implIS3_NS0_12zip_iteratorINS5_IJN6thrust23THRUST_200600_302600_NS6detail15normal_iteratorINSC_10device_ptrIKiEEEENSE_INSF_IKfEEEEEEEEESN_NSA_INS5_IJNSE_INSF_IiEEEENSE_INSF_IfEEEEEEEEEPS7_SU_SU_NSC_11hip_rocprim7__merge17predicate_wrapperIifNSC_4lessIiEEEEEE10hipError_tPvRmT0_T1_T2_T3_T4_T5_mmT6_P12ihipStream_tbEUlT_E_NS1_11comp_targetILNS1_3genE8ELNS1_11target_archE1030ELNS1_3gpuE2ELNS1_3repE0EEENS1_30default_config_static_selectorELNS0_4arch9wavefront6targetE0EEEvS15_
		.amdhsa_group_segment_fixed_size 0
		.amdhsa_private_segment_fixed_size 0
		.amdhsa_kernarg_size 320
		.amdhsa_user_sgpr_count 6
		.amdhsa_user_sgpr_private_segment_buffer 1
		.amdhsa_user_sgpr_dispatch_ptr 0
		.amdhsa_user_sgpr_queue_ptr 0
		.amdhsa_user_sgpr_kernarg_segment_ptr 1
		.amdhsa_user_sgpr_dispatch_id 0
		.amdhsa_user_sgpr_flat_scratch_init 0
		.amdhsa_user_sgpr_private_segment_size 0
		.amdhsa_wavefront_size32 1
		.amdhsa_uses_dynamic_stack 0
		.amdhsa_system_sgpr_private_segment_wavefront_offset 0
		.amdhsa_system_sgpr_workgroup_id_x 1
		.amdhsa_system_sgpr_workgroup_id_y 0
		.amdhsa_system_sgpr_workgroup_id_z 0
		.amdhsa_system_sgpr_workgroup_info 0
		.amdhsa_system_vgpr_workitem_id 0
		.amdhsa_next_free_vgpr 13
		.amdhsa_next_free_sgpr 16
		.amdhsa_reserve_vcc 1
		.amdhsa_reserve_flat_scratch 0
		.amdhsa_float_round_mode_32 0
		.amdhsa_float_round_mode_16_64 0
		.amdhsa_float_denorm_mode_32 3
		.amdhsa_float_denorm_mode_16_64 3
		.amdhsa_dx10_clamp 1
		.amdhsa_ieee_mode 1
		.amdhsa_fp16_overflow 0
		.amdhsa_workgroup_processor_mode 1
		.amdhsa_memory_ordered 1
		.amdhsa_forward_progress 1
		.amdhsa_shared_vgpr_count 0
		.amdhsa_exception_fp_ieee_invalid_op 0
		.amdhsa_exception_fp_denorm_src 0
		.amdhsa_exception_fp_ieee_div_zero 0
		.amdhsa_exception_fp_ieee_overflow 0
		.amdhsa_exception_fp_ieee_underflow 0
		.amdhsa_exception_fp_ieee_inexact 0
		.amdhsa_exception_int_div_zero 0
	.end_amdhsa_kernel
	.section	.text._ZN7rocprim17ROCPRIM_400000_NS6detail17trampoline_kernelINS0_14default_configENS1_21merge_config_selectorINS0_5tupleIJifEEENS0_10empty_typeEEEZNS1_10merge_implIS3_NS0_12zip_iteratorINS5_IJN6thrust23THRUST_200600_302600_NS6detail15normal_iteratorINSC_10device_ptrIKiEEEENSE_INSF_IKfEEEEEEEEESN_NSA_INS5_IJNSE_INSF_IiEEEENSE_INSF_IfEEEEEEEEEPS7_SU_SU_NSC_11hip_rocprim7__merge17predicate_wrapperIifNSC_4lessIiEEEEEE10hipError_tPvRmT0_T1_T2_T3_T4_T5_mmT6_P12ihipStream_tbEUlT_E_NS1_11comp_targetILNS1_3genE8ELNS1_11target_archE1030ELNS1_3gpuE2ELNS1_3repE0EEENS1_30default_config_static_selectorELNS0_4arch9wavefront6targetE0EEEvS15_,"axG",@progbits,_ZN7rocprim17ROCPRIM_400000_NS6detail17trampoline_kernelINS0_14default_configENS1_21merge_config_selectorINS0_5tupleIJifEEENS0_10empty_typeEEEZNS1_10merge_implIS3_NS0_12zip_iteratorINS5_IJN6thrust23THRUST_200600_302600_NS6detail15normal_iteratorINSC_10device_ptrIKiEEEENSE_INSF_IKfEEEEEEEEESN_NSA_INS5_IJNSE_INSF_IiEEEENSE_INSF_IfEEEEEEEEEPS7_SU_SU_NSC_11hip_rocprim7__merge17predicate_wrapperIifNSC_4lessIiEEEEEE10hipError_tPvRmT0_T1_T2_T3_T4_T5_mmT6_P12ihipStream_tbEUlT_E_NS1_11comp_targetILNS1_3genE8ELNS1_11target_archE1030ELNS1_3gpuE2ELNS1_3repE0EEENS1_30default_config_static_selectorELNS0_4arch9wavefront6targetE0EEEvS15_,comdat
.Lfunc_end10:
	.size	_ZN7rocprim17ROCPRIM_400000_NS6detail17trampoline_kernelINS0_14default_configENS1_21merge_config_selectorINS0_5tupleIJifEEENS0_10empty_typeEEEZNS1_10merge_implIS3_NS0_12zip_iteratorINS5_IJN6thrust23THRUST_200600_302600_NS6detail15normal_iteratorINSC_10device_ptrIKiEEEENSE_INSF_IKfEEEEEEEEESN_NSA_INS5_IJNSE_INSF_IiEEEENSE_INSF_IfEEEEEEEEEPS7_SU_SU_NSC_11hip_rocprim7__merge17predicate_wrapperIifNSC_4lessIiEEEEEE10hipError_tPvRmT0_T1_T2_T3_T4_T5_mmT6_P12ihipStream_tbEUlT_E_NS1_11comp_targetILNS1_3genE8ELNS1_11target_archE1030ELNS1_3gpuE2ELNS1_3repE0EEENS1_30default_config_static_selectorELNS0_4arch9wavefront6targetE0EEEvS15_, .Lfunc_end10-_ZN7rocprim17ROCPRIM_400000_NS6detail17trampoline_kernelINS0_14default_configENS1_21merge_config_selectorINS0_5tupleIJifEEENS0_10empty_typeEEEZNS1_10merge_implIS3_NS0_12zip_iteratorINS5_IJN6thrust23THRUST_200600_302600_NS6detail15normal_iteratorINSC_10device_ptrIKiEEEENSE_INSF_IKfEEEEEEEEESN_NSA_INS5_IJNSE_INSF_IiEEEENSE_INSF_IfEEEEEEEEEPS7_SU_SU_NSC_11hip_rocprim7__merge17predicate_wrapperIifNSC_4lessIiEEEEEE10hipError_tPvRmT0_T1_T2_T3_T4_T5_mmT6_P12ihipStream_tbEUlT_E_NS1_11comp_targetILNS1_3genE8ELNS1_11target_archE1030ELNS1_3gpuE2ELNS1_3repE0EEENS1_30default_config_static_selectorELNS0_4arch9wavefront6targetE0EEEvS15_
                                        ; -- End function
	.set _ZN7rocprim17ROCPRIM_400000_NS6detail17trampoline_kernelINS0_14default_configENS1_21merge_config_selectorINS0_5tupleIJifEEENS0_10empty_typeEEEZNS1_10merge_implIS3_NS0_12zip_iteratorINS5_IJN6thrust23THRUST_200600_302600_NS6detail15normal_iteratorINSC_10device_ptrIKiEEEENSE_INSF_IKfEEEEEEEEESN_NSA_INS5_IJNSE_INSF_IiEEEENSE_INSF_IfEEEEEEEEEPS7_SU_SU_NSC_11hip_rocprim7__merge17predicate_wrapperIifNSC_4lessIiEEEEEE10hipError_tPvRmT0_T1_T2_T3_T4_T5_mmT6_P12ihipStream_tbEUlT_E_NS1_11comp_targetILNS1_3genE8ELNS1_11target_archE1030ELNS1_3gpuE2ELNS1_3repE0EEENS1_30default_config_static_selectorELNS0_4arch9wavefront6targetE0EEEvS15_.num_vgpr, 13
	.set _ZN7rocprim17ROCPRIM_400000_NS6detail17trampoline_kernelINS0_14default_configENS1_21merge_config_selectorINS0_5tupleIJifEEENS0_10empty_typeEEEZNS1_10merge_implIS3_NS0_12zip_iteratorINS5_IJN6thrust23THRUST_200600_302600_NS6detail15normal_iteratorINSC_10device_ptrIKiEEEENSE_INSF_IKfEEEEEEEEESN_NSA_INS5_IJNSE_INSF_IiEEEENSE_INSF_IfEEEEEEEEEPS7_SU_SU_NSC_11hip_rocprim7__merge17predicate_wrapperIifNSC_4lessIiEEEEEE10hipError_tPvRmT0_T1_T2_T3_T4_T5_mmT6_P12ihipStream_tbEUlT_E_NS1_11comp_targetILNS1_3genE8ELNS1_11target_archE1030ELNS1_3gpuE2ELNS1_3repE0EEENS1_30default_config_static_selectorELNS0_4arch9wavefront6targetE0EEEvS15_.num_agpr, 0
	.set _ZN7rocprim17ROCPRIM_400000_NS6detail17trampoline_kernelINS0_14default_configENS1_21merge_config_selectorINS0_5tupleIJifEEENS0_10empty_typeEEEZNS1_10merge_implIS3_NS0_12zip_iteratorINS5_IJN6thrust23THRUST_200600_302600_NS6detail15normal_iteratorINSC_10device_ptrIKiEEEENSE_INSF_IKfEEEEEEEEESN_NSA_INS5_IJNSE_INSF_IiEEEENSE_INSF_IfEEEEEEEEEPS7_SU_SU_NSC_11hip_rocprim7__merge17predicate_wrapperIifNSC_4lessIiEEEEEE10hipError_tPvRmT0_T1_T2_T3_T4_T5_mmT6_P12ihipStream_tbEUlT_E_NS1_11comp_targetILNS1_3genE8ELNS1_11target_archE1030ELNS1_3gpuE2ELNS1_3repE0EEENS1_30default_config_static_selectorELNS0_4arch9wavefront6targetE0EEEvS15_.numbered_sgpr, 16
	.set _ZN7rocprim17ROCPRIM_400000_NS6detail17trampoline_kernelINS0_14default_configENS1_21merge_config_selectorINS0_5tupleIJifEEENS0_10empty_typeEEEZNS1_10merge_implIS3_NS0_12zip_iteratorINS5_IJN6thrust23THRUST_200600_302600_NS6detail15normal_iteratorINSC_10device_ptrIKiEEEENSE_INSF_IKfEEEEEEEEESN_NSA_INS5_IJNSE_INSF_IiEEEENSE_INSF_IfEEEEEEEEEPS7_SU_SU_NSC_11hip_rocprim7__merge17predicate_wrapperIifNSC_4lessIiEEEEEE10hipError_tPvRmT0_T1_T2_T3_T4_T5_mmT6_P12ihipStream_tbEUlT_E_NS1_11comp_targetILNS1_3genE8ELNS1_11target_archE1030ELNS1_3gpuE2ELNS1_3repE0EEENS1_30default_config_static_selectorELNS0_4arch9wavefront6targetE0EEEvS15_.num_named_barrier, 0
	.set _ZN7rocprim17ROCPRIM_400000_NS6detail17trampoline_kernelINS0_14default_configENS1_21merge_config_selectorINS0_5tupleIJifEEENS0_10empty_typeEEEZNS1_10merge_implIS3_NS0_12zip_iteratorINS5_IJN6thrust23THRUST_200600_302600_NS6detail15normal_iteratorINSC_10device_ptrIKiEEEENSE_INSF_IKfEEEEEEEEESN_NSA_INS5_IJNSE_INSF_IiEEEENSE_INSF_IfEEEEEEEEEPS7_SU_SU_NSC_11hip_rocprim7__merge17predicate_wrapperIifNSC_4lessIiEEEEEE10hipError_tPvRmT0_T1_T2_T3_T4_T5_mmT6_P12ihipStream_tbEUlT_E_NS1_11comp_targetILNS1_3genE8ELNS1_11target_archE1030ELNS1_3gpuE2ELNS1_3repE0EEENS1_30default_config_static_selectorELNS0_4arch9wavefront6targetE0EEEvS15_.private_seg_size, 0
	.set _ZN7rocprim17ROCPRIM_400000_NS6detail17trampoline_kernelINS0_14default_configENS1_21merge_config_selectorINS0_5tupleIJifEEENS0_10empty_typeEEEZNS1_10merge_implIS3_NS0_12zip_iteratorINS5_IJN6thrust23THRUST_200600_302600_NS6detail15normal_iteratorINSC_10device_ptrIKiEEEENSE_INSF_IKfEEEEEEEEESN_NSA_INS5_IJNSE_INSF_IiEEEENSE_INSF_IfEEEEEEEEEPS7_SU_SU_NSC_11hip_rocprim7__merge17predicate_wrapperIifNSC_4lessIiEEEEEE10hipError_tPvRmT0_T1_T2_T3_T4_T5_mmT6_P12ihipStream_tbEUlT_E_NS1_11comp_targetILNS1_3genE8ELNS1_11target_archE1030ELNS1_3gpuE2ELNS1_3repE0EEENS1_30default_config_static_selectorELNS0_4arch9wavefront6targetE0EEEvS15_.uses_vcc, 1
	.set _ZN7rocprim17ROCPRIM_400000_NS6detail17trampoline_kernelINS0_14default_configENS1_21merge_config_selectorINS0_5tupleIJifEEENS0_10empty_typeEEEZNS1_10merge_implIS3_NS0_12zip_iteratorINS5_IJN6thrust23THRUST_200600_302600_NS6detail15normal_iteratorINSC_10device_ptrIKiEEEENSE_INSF_IKfEEEEEEEEESN_NSA_INS5_IJNSE_INSF_IiEEEENSE_INSF_IfEEEEEEEEEPS7_SU_SU_NSC_11hip_rocprim7__merge17predicate_wrapperIifNSC_4lessIiEEEEEE10hipError_tPvRmT0_T1_T2_T3_T4_T5_mmT6_P12ihipStream_tbEUlT_E_NS1_11comp_targetILNS1_3genE8ELNS1_11target_archE1030ELNS1_3gpuE2ELNS1_3repE0EEENS1_30default_config_static_selectorELNS0_4arch9wavefront6targetE0EEEvS15_.uses_flat_scratch, 0
	.set _ZN7rocprim17ROCPRIM_400000_NS6detail17trampoline_kernelINS0_14default_configENS1_21merge_config_selectorINS0_5tupleIJifEEENS0_10empty_typeEEEZNS1_10merge_implIS3_NS0_12zip_iteratorINS5_IJN6thrust23THRUST_200600_302600_NS6detail15normal_iteratorINSC_10device_ptrIKiEEEENSE_INSF_IKfEEEEEEEEESN_NSA_INS5_IJNSE_INSF_IiEEEENSE_INSF_IfEEEEEEEEEPS7_SU_SU_NSC_11hip_rocprim7__merge17predicate_wrapperIifNSC_4lessIiEEEEEE10hipError_tPvRmT0_T1_T2_T3_T4_T5_mmT6_P12ihipStream_tbEUlT_E_NS1_11comp_targetILNS1_3genE8ELNS1_11target_archE1030ELNS1_3gpuE2ELNS1_3repE0EEENS1_30default_config_static_selectorELNS0_4arch9wavefront6targetE0EEEvS15_.has_dyn_sized_stack, 0
	.set _ZN7rocprim17ROCPRIM_400000_NS6detail17trampoline_kernelINS0_14default_configENS1_21merge_config_selectorINS0_5tupleIJifEEENS0_10empty_typeEEEZNS1_10merge_implIS3_NS0_12zip_iteratorINS5_IJN6thrust23THRUST_200600_302600_NS6detail15normal_iteratorINSC_10device_ptrIKiEEEENSE_INSF_IKfEEEEEEEEESN_NSA_INS5_IJNSE_INSF_IiEEEENSE_INSF_IfEEEEEEEEEPS7_SU_SU_NSC_11hip_rocprim7__merge17predicate_wrapperIifNSC_4lessIiEEEEEE10hipError_tPvRmT0_T1_T2_T3_T4_T5_mmT6_P12ihipStream_tbEUlT_E_NS1_11comp_targetILNS1_3genE8ELNS1_11target_archE1030ELNS1_3gpuE2ELNS1_3repE0EEENS1_30default_config_static_selectorELNS0_4arch9wavefront6targetE0EEEvS15_.has_recursion, 0
	.set _ZN7rocprim17ROCPRIM_400000_NS6detail17trampoline_kernelINS0_14default_configENS1_21merge_config_selectorINS0_5tupleIJifEEENS0_10empty_typeEEEZNS1_10merge_implIS3_NS0_12zip_iteratorINS5_IJN6thrust23THRUST_200600_302600_NS6detail15normal_iteratorINSC_10device_ptrIKiEEEENSE_INSF_IKfEEEEEEEEESN_NSA_INS5_IJNSE_INSF_IiEEEENSE_INSF_IfEEEEEEEEEPS7_SU_SU_NSC_11hip_rocprim7__merge17predicate_wrapperIifNSC_4lessIiEEEEEE10hipError_tPvRmT0_T1_T2_T3_T4_T5_mmT6_P12ihipStream_tbEUlT_E_NS1_11comp_targetILNS1_3genE8ELNS1_11target_archE1030ELNS1_3gpuE2ELNS1_3repE0EEENS1_30default_config_static_selectorELNS0_4arch9wavefront6targetE0EEEvS15_.has_indirect_call, 0
	.section	.AMDGPU.csdata,"",@progbits
; Kernel info:
; codeLenInByte = 520
; TotalNumSgprs: 18
; NumVgprs: 13
; ScratchSize: 0
; MemoryBound: 0
; FloatMode: 240
; IeeeMode: 1
; LDSByteSize: 0 bytes/workgroup (compile time only)
; SGPRBlocks: 0
; VGPRBlocks: 1
; NumSGPRsForWavesPerEU: 18
; NumVGPRsForWavesPerEU: 13
; Occupancy: 16
; WaveLimiterHint : 0
; COMPUTE_PGM_RSRC2:SCRATCH_EN: 0
; COMPUTE_PGM_RSRC2:USER_SGPR: 6
; COMPUTE_PGM_RSRC2:TRAP_HANDLER: 0
; COMPUTE_PGM_RSRC2:TGID_X_EN: 1
; COMPUTE_PGM_RSRC2:TGID_Y_EN: 0
; COMPUTE_PGM_RSRC2:TGID_Z_EN: 0
; COMPUTE_PGM_RSRC2:TIDIG_COMP_CNT: 0
	.section	.text._ZN7rocprim17ROCPRIM_400000_NS6detail17trampoline_kernelINS0_14default_configENS1_21merge_config_selectorINS0_5tupleIJifEEENS0_10empty_typeEEEZNS1_10merge_implIS3_NS0_12zip_iteratorINS5_IJN6thrust23THRUST_200600_302600_NS6detail15normal_iteratorINSC_10device_ptrIKiEEEENSE_INSF_IKfEEEEEEEEESN_NSA_INS5_IJNSE_INSF_IiEEEENSE_INSF_IfEEEEEEEEEPS7_SU_SU_NSC_11hip_rocprim7__merge17predicate_wrapperIifNSC_4lessIiEEEEEE10hipError_tPvRmT0_T1_T2_T3_T4_T5_mmT6_P12ihipStream_tbEUlT_E0_NS1_11comp_targetILNS1_3genE0ELNS1_11target_archE4294967295ELNS1_3gpuE0ELNS1_3repE0EEENS1_30default_config_static_selectorELNS0_4arch9wavefront6targetE0EEEvS15_,"axG",@progbits,_ZN7rocprim17ROCPRIM_400000_NS6detail17trampoline_kernelINS0_14default_configENS1_21merge_config_selectorINS0_5tupleIJifEEENS0_10empty_typeEEEZNS1_10merge_implIS3_NS0_12zip_iteratorINS5_IJN6thrust23THRUST_200600_302600_NS6detail15normal_iteratorINSC_10device_ptrIKiEEEENSE_INSF_IKfEEEEEEEEESN_NSA_INS5_IJNSE_INSF_IiEEEENSE_INSF_IfEEEEEEEEEPS7_SU_SU_NSC_11hip_rocprim7__merge17predicate_wrapperIifNSC_4lessIiEEEEEE10hipError_tPvRmT0_T1_T2_T3_T4_T5_mmT6_P12ihipStream_tbEUlT_E0_NS1_11comp_targetILNS1_3genE0ELNS1_11target_archE4294967295ELNS1_3gpuE0ELNS1_3repE0EEENS1_30default_config_static_selectorELNS0_4arch9wavefront6targetE0EEEvS15_,comdat
	.protected	_ZN7rocprim17ROCPRIM_400000_NS6detail17trampoline_kernelINS0_14default_configENS1_21merge_config_selectorINS0_5tupleIJifEEENS0_10empty_typeEEEZNS1_10merge_implIS3_NS0_12zip_iteratorINS5_IJN6thrust23THRUST_200600_302600_NS6detail15normal_iteratorINSC_10device_ptrIKiEEEENSE_INSF_IKfEEEEEEEEESN_NSA_INS5_IJNSE_INSF_IiEEEENSE_INSF_IfEEEEEEEEEPS7_SU_SU_NSC_11hip_rocprim7__merge17predicate_wrapperIifNSC_4lessIiEEEEEE10hipError_tPvRmT0_T1_T2_T3_T4_T5_mmT6_P12ihipStream_tbEUlT_E0_NS1_11comp_targetILNS1_3genE0ELNS1_11target_archE4294967295ELNS1_3gpuE0ELNS1_3repE0EEENS1_30default_config_static_selectorELNS0_4arch9wavefront6targetE0EEEvS15_ ; -- Begin function _ZN7rocprim17ROCPRIM_400000_NS6detail17trampoline_kernelINS0_14default_configENS1_21merge_config_selectorINS0_5tupleIJifEEENS0_10empty_typeEEEZNS1_10merge_implIS3_NS0_12zip_iteratorINS5_IJN6thrust23THRUST_200600_302600_NS6detail15normal_iteratorINSC_10device_ptrIKiEEEENSE_INSF_IKfEEEEEEEEESN_NSA_INS5_IJNSE_INSF_IiEEEENSE_INSF_IfEEEEEEEEEPS7_SU_SU_NSC_11hip_rocprim7__merge17predicate_wrapperIifNSC_4lessIiEEEEEE10hipError_tPvRmT0_T1_T2_T3_T4_T5_mmT6_P12ihipStream_tbEUlT_E0_NS1_11comp_targetILNS1_3genE0ELNS1_11target_archE4294967295ELNS1_3gpuE0ELNS1_3repE0EEENS1_30default_config_static_selectorELNS0_4arch9wavefront6targetE0EEEvS15_
	.globl	_ZN7rocprim17ROCPRIM_400000_NS6detail17trampoline_kernelINS0_14default_configENS1_21merge_config_selectorINS0_5tupleIJifEEENS0_10empty_typeEEEZNS1_10merge_implIS3_NS0_12zip_iteratorINS5_IJN6thrust23THRUST_200600_302600_NS6detail15normal_iteratorINSC_10device_ptrIKiEEEENSE_INSF_IKfEEEEEEEEESN_NSA_INS5_IJNSE_INSF_IiEEEENSE_INSF_IfEEEEEEEEEPS7_SU_SU_NSC_11hip_rocprim7__merge17predicate_wrapperIifNSC_4lessIiEEEEEE10hipError_tPvRmT0_T1_T2_T3_T4_T5_mmT6_P12ihipStream_tbEUlT_E0_NS1_11comp_targetILNS1_3genE0ELNS1_11target_archE4294967295ELNS1_3gpuE0ELNS1_3repE0EEENS1_30default_config_static_selectorELNS0_4arch9wavefront6targetE0EEEvS15_
	.p2align	8
	.type	_ZN7rocprim17ROCPRIM_400000_NS6detail17trampoline_kernelINS0_14default_configENS1_21merge_config_selectorINS0_5tupleIJifEEENS0_10empty_typeEEEZNS1_10merge_implIS3_NS0_12zip_iteratorINS5_IJN6thrust23THRUST_200600_302600_NS6detail15normal_iteratorINSC_10device_ptrIKiEEEENSE_INSF_IKfEEEEEEEEESN_NSA_INS5_IJNSE_INSF_IiEEEENSE_INSF_IfEEEEEEEEEPS7_SU_SU_NSC_11hip_rocprim7__merge17predicate_wrapperIifNSC_4lessIiEEEEEE10hipError_tPvRmT0_T1_T2_T3_T4_T5_mmT6_P12ihipStream_tbEUlT_E0_NS1_11comp_targetILNS1_3genE0ELNS1_11target_archE4294967295ELNS1_3gpuE0ELNS1_3repE0EEENS1_30default_config_static_selectorELNS0_4arch9wavefront6targetE0EEEvS15_,@function
_ZN7rocprim17ROCPRIM_400000_NS6detail17trampoline_kernelINS0_14default_configENS1_21merge_config_selectorINS0_5tupleIJifEEENS0_10empty_typeEEEZNS1_10merge_implIS3_NS0_12zip_iteratorINS5_IJN6thrust23THRUST_200600_302600_NS6detail15normal_iteratorINSC_10device_ptrIKiEEEENSE_INSF_IKfEEEEEEEEESN_NSA_INS5_IJNSE_INSF_IiEEEENSE_INSF_IfEEEEEEEEEPS7_SU_SU_NSC_11hip_rocprim7__merge17predicate_wrapperIifNSC_4lessIiEEEEEE10hipError_tPvRmT0_T1_T2_T3_T4_T5_mmT6_P12ihipStream_tbEUlT_E0_NS1_11comp_targetILNS1_3genE0ELNS1_11target_archE4294967295ELNS1_3gpuE0ELNS1_3repE0EEENS1_30default_config_static_selectorELNS0_4arch9wavefront6targetE0EEEvS15_: ; @_ZN7rocprim17ROCPRIM_400000_NS6detail17trampoline_kernelINS0_14default_configENS1_21merge_config_selectorINS0_5tupleIJifEEENS0_10empty_typeEEEZNS1_10merge_implIS3_NS0_12zip_iteratorINS5_IJN6thrust23THRUST_200600_302600_NS6detail15normal_iteratorINSC_10device_ptrIKiEEEENSE_INSF_IKfEEEEEEEEESN_NSA_INS5_IJNSE_INSF_IiEEEENSE_INSF_IfEEEEEEEEEPS7_SU_SU_NSC_11hip_rocprim7__merge17predicate_wrapperIifNSC_4lessIiEEEEEE10hipError_tPvRmT0_T1_T2_T3_T4_T5_mmT6_P12ihipStream_tbEUlT_E0_NS1_11comp_targetILNS1_3genE0ELNS1_11target_archE4294967295ELNS1_3gpuE0ELNS1_3repE0EEENS1_30default_config_static_selectorELNS0_4arch9wavefront6targetE0EEEvS15_
; %bb.0:
	.section	.rodata,"a",@progbits
	.p2align	6, 0x0
	.amdhsa_kernel _ZN7rocprim17ROCPRIM_400000_NS6detail17trampoline_kernelINS0_14default_configENS1_21merge_config_selectorINS0_5tupleIJifEEENS0_10empty_typeEEEZNS1_10merge_implIS3_NS0_12zip_iteratorINS5_IJN6thrust23THRUST_200600_302600_NS6detail15normal_iteratorINSC_10device_ptrIKiEEEENSE_INSF_IKfEEEEEEEEESN_NSA_INS5_IJNSE_INSF_IiEEEENSE_INSF_IfEEEEEEEEEPS7_SU_SU_NSC_11hip_rocprim7__merge17predicate_wrapperIifNSC_4lessIiEEEEEE10hipError_tPvRmT0_T1_T2_T3_T4_T5_mmT6_P12ihipStream_tbEUlT_E0_NS1_11comp_targetILNS1_3genE0ELNS1_11target_archE4294967295ELNS1_3gpuE0ELNS1_3repE0EEENS1_30default_config_static_selectorELNS0_4arch9wavefront6targetE0EEEvS15_
		.amdhsa_group_segment_fixed_size 0
		.amdhsa_private_segment_fixed_size 0
		.amdhsa_kernarg_size 112
		.amdhsa_user_sgpr_count 6
		.amdhsa_user_sgpr_private_segment_buffer 1
		.amdhsa_user_sgpr_dispatch_ptr 0
		.amdhsa_user_sgpr_queue_ptr 0
		.amdhsa_user_sgpr_kernarg_segment_ptr 1
		.amdhsa_user_sgpr_dispatch_id 0
		.amdhsa_user_sgpr_flat_scratch_init 0
		.amdhsa_user_sgpr_private_segment_size 0
		.amdhsa_wavefront_size32 1
		.amdhsa_uses_dynamic_stack 0
		.amdhsa_system_sgpr_private_segment_wavefront_offset 0
		.amdhsa_system_sgpr_workgroup_id_x 1
		.amdhsa_system_sgpr_workgroup_id_y 0
		.amdhsa_system_sgpr_workgroup_id_z 0
		.amdhsa_system_sgpr_workgroup_info 0
		.amdhsa_system_vgpr_workitem_id 0
		.amdhsa_next_free_vgpr 1
		.amdhsa_next_free_sgpr 1
		.amdhsa_reserve_vcc 0
		.amdhsa_reserve_flat_scratch 0
		.amdhsa_float_round_mode_32 0
		.amdhsa_float_round_mode_16_64 0
		.amdhsa_float_denorm_mode_32 3
		.amdhsa_float_denorm_mode_16_64 3
		.amdhsa_dx10_clamp 1
		.amdhsa_ieee_mode 1
		.amdhsa_fp16_overflow 0
		.amdhsa_workgroup_processor_mode 1
		.amdhsa_memory_ordered 1
		.amdhsa_forward_progress 1
		.amdhsa_shared_vgpr_count 0
		.amdhsa_exception_fp_ieee_invalid_op 0
		.amdhsa_exception_fp_denorm_src 0
		.amdhsa_exception_fp_ieee_div_zero 0
		.amdhsa_exception_fp_ieee_overflow 0
		.amdhsa_exception_fp_ieee_underflow 0
		.amdhsa_exception_fp_ieee_inexact 0
		.amdhsa_exception_int_div_zero 0
	.end_amdhsa_kernel
	.section	.text._ZN7rocprim17ROCPRIM_400000_NS6detail17trampoline_kernelINS0_14default_configENS1_21merge_config_selectorINS0_5tupleIJifEEENS0_10empty_typeEEEZNS1_10merge_implIS3_NS0_12zip_iteratorINS5_IJN6thrust23THRUST_200600_302600_NS6detail15normal_iteratorINSC_10device_ptrIKiEEEENSE_INSF_IKfEEEEEEEEESN_NSA_INS5_IJNSE_INSF_IiEEEENSE_INSF_IfEEEEEEEEEPS7_SU_SU_NSC_11hip_rocprim7__merge17predicate_wrapperIifNSC_4lessIiEEEEEE10hipError_tPvRmT0_T1_T2_T3_T4_T5_mmT6_P12ihipStream_tbEUlT_E0_NS1_11comp_targetILNS1_3genE0ELNS1_11target_archE4294967295ELNS1_3gpuE0ELNS1_3repE0EEENS1_30default_config_static_selectorELNS0_4arch9wavefront6targetE0EEEvS15_,"axG",@progbits,_ZN7rocprim17ROCPRIM_400000_NS6detail17trampoline_kernelINS0_14default_configENS1_21merge_config_selectorINS0_5tupleIJifEEENS0_10empty_typeEEEZNS1_10merge_implIS3_NS0_12zip_iteratorINS5_IJN6thrust23THRUST_200600_302600_NS6detail15normal_iteratorINSC_10device_ptrIKiEEEENSE_INSF_IKfEEEEEEEEESN_NSA_INS5_IJNSE_INSF_IiEEEENSE_INSF_IfEEEEEEEEEPS7_SU_SU_NSC_11hip_rocprim7__merge17predicate_wrapperIifNSC_4lessIiEEEEEE10hipError_tPvRmT0_T1_T2_T3_T4_T5_mmT6_P12ihipStream_tbEUlT_E0_NS1_11comp_targetILNS1_3genE0ELNS1_11target_archE4294967295ELNS1_3gpuE0ELNS1_3repE0EEENS1_30default_config_static_selectorELNS0_4arch9wavefront6targetE0EEEvS15_,comdat
.Lfunc_end11:
	.size	_ZN7rocprim17ROCPRIM_400000_NS6detail17trampoline_kernelINS0_14default_configENS1_21merge_config_selectorINS0_5tupleIJifEEENS0_10empty_typeEEEZNS1_10merge_implIS3_NS0_12zip_iteratorINS5_IJN6thrust23THRUST_200600_302600_NS6detail15normal_iteratorINSC_10device_ptrIKiEEEENSE_INSF_IKfEEEEEEEEESN_NSA_INS5_IJNSE_INSF_IiEEEENSE_INSF_IfEEEEEEEEEPS7_SU_SU_NSC_11hip_rocprim7__merge17predicate_wrapperIifNSC_4lessIiEEEEEE10hipError_tPvRmT0_T1_T2_T3_T4_T5_mmT6_P12ihipStream_tbEUlT_E0_NS1_11comp_targetILNS1_3genE0ELNS1_11target_archE4294967295ELNS1_3gpuE0ELNS1_3repE0EEENS1_30default_config_static_selectorELNS0_4arch9wavefront6targetE0EEEvS15_, .Lfunc_end11-_ZN7rocprim17ROCPRIM_400000_NS6detail17trampoline_kernelINS0_14default_configENS1_21merge_config_selectorINS0_5tupleIJifEEENS0_10empty_typeEEEZNS1_10merge_implIS3_NS0_12zip_iteratorINS5_IJN6thrust23THRUST_200600_302600_NS6detail15normal_iteratorINSC_10device_ptrIKiEEEENSE_INSF_IKfEEEEEEEEESN_NSA_INS5_IJNSE_INSF_IiEEEENSE_INSF_IfEEEEEEEEEPS7_SU_SU_NSC_11hip_rocprim7__merge17predicate_wrapperIifNSC_4lessIiEEEEEE10hipError_tPvRmT0_T1_T2_T3_T4_T5_mmT6_P12ihipStream_tbEUlT_E0_NS1_11comp_targetILNS1_3genE0ELNS1_11target_archE4294967295ELNS1_3gpuE0ELNS1_3repE0EEENS1_30default_config_static_selectorELNS0_4arch9wavefront6targetE0EEEvS15_
                                        ; -- End function
	.set _ZN7rocprim17ROCPRIM_400000_NS6detail17trampoline_kernelINS0_14default_configENS1_21merge_config_selectorINS0_5tupleIJifEEENS0_10empty_typeEEEZNS1_10merge_implIS3_NS0_12zip_iteratorINS5_IJN6thrust23THRUST_200600_302600_NS6detail15normal_iteratorINSC_10device_ptrIKiEEEENSE_INSF_IKfEEEEEEEEESN_NSA_INS5_IJNSE_INSF_IiEEEENSE_INSF_IfEEEEEEEEEPS7_SU_SU_NSC_11hip_rocprim7__merge17predicate_wrapperIifNSC_4lessIiEEEEEE10hipError_tPvRmT0_T1_T2_T3_T4_T5_mmT6_P12ihipStream_tbEUlT_E0_NS1_11comp_targetILNS1_3genE0ELNS1_11target_archE4294967295ELNS1_3gpuE0ELNS1_3repE0EEENS1_30default_config_static_selectorELNS0_4arch9wavefront6targetE0EEEvS15_.num_vgpr, 0
	.set _ZN7rocprim17ROCPRIM_400000_NS6detail17trampoline_kernelINS0_14default_configENS1_21merge_config_selectorINS0_5tupleIJifEEENS0_10empty_typeEEEZNS1_10merge_implIS3_NS0_12zip_iteratorINS5_IJN6thrust23THRUST_200600_302600_NS6detail15normal_iteratorINSC_10device_ptrIKiEEEENSE_INSF_IKfEEEEEEEEESN_NSA_INS5_IJNSE_INSF_IiEEEENSE_INSF_IfEEEEEEEEEPS7_SU_SU_NSC_11hip_rocprim7__merge17predicate_wrapperIifNSC_4lessIiEEEEEE10hipError_tPvRmT0_T1_T2_T3_T4_T5_mmT6_P12ihipStream_tbEUlT_E0_NS1_11comp_targetILNS1_3genE0ELNS1_11target_archE4294967295ELNS1_3gpuE0ELNS1_3repE0EEENS1_30default_config_static_selectorELNS0_4arch9wavefront6targetE0EEEvS15_.num_agpr, 0
	.set _ZN7rocprim17ROCPRIM_400000_NS6detail17trampoline_kernelINS0_14default_configENS1_21merge_config_selectorINS0_5tupleIJifEEENS0_10empty_typeEEEZNS1_10merge_implIS3_NS0_12zip_iteratorINS5_IJN6thrust23THRUST_200600_302600_NS6detail15normal_iteratorINSC_10device_ptrIKiEEEENSE_INSF_IKfEEEEEEEEESN_NSA_INS5_IJNSE_INSF_IiEEEENSE_INSF_IfEEEEEEEEEPS7_SU_SU_NSC_11hip_rocprim7__merge17predicate_wrapperIifNSC_4lessIiEEEEEE10hipError_tPvRmT0_T1_T2_T3_T4_T5_mmT6_P12ihipStream_tbEUlT_E0_NS1_11comp_targetILNS1_3genE0ELNS1_11target_archE4294967295ELNS1_3gpuE0ELNS1_3repE0EEENS1_30default_config_static_selectorELNS0_4arch9wavefront6targetE0EEEvS15_.numbered_sgpr, 0
	.set _ZN7rocprim17ROCPRIM_400000_NS6detail17trampoline_kernelINS0_14default_configENS1_21merge_config_selectorINS0_5tupleIJifEEENS0_10empty_typeEEEZNS1_10merge_implIS3_NS0_12zip_iteratorINS5_IJN6thrust23THRUST_200600_302600_NS6detail15normal_iteratorINSC_10device_ptrIKiEEEENSE_INSF_IKfEEEEEEEEESN_NSA_INS5_IJNSE_INSF_IiEEEENSE_INSF_IfEEEEEEEEEPS7_SU_SU_NSC_11hip_rocprim7__merge17predicate_wrapperIifNSC_4lessIiEEEEEE10hipError_tPvRmT0_T1_T2_T3_T4_T5_mmT6_P12ihipStream_tbEUlT_E0_NS1_11comp_targetILNS1_3genE0ELNS1_11target_archE4294967295ELNS1_3gpuE0ELNS1_3repE0EEENS1_30default_config_static_selectorELNS0_4arch9wavefront6targetE0EEEvS15_.num_named_barrier, 0
	.set _ZN7rocprim17ROCPRIM_400000_NS6detail17trampoline_kernelINS0_14default_configENS1_21merge_config_selectorINS0_5tupleIJifEEENS0_10empty_typeEEEZNS1_10merge_implIS3_NS0_12zip_iteratorINS5_IJN6thrust23THRUST_200600_302600_NS6detail15normal_iteratorINSC_10device_ptrIKiEEEENSE_INSF_IKfEEEEEEEEESN_NSA_INS5_IJNSE_INSF_IiEEEENSE_INSF_IfEEEEEEEEEPS7_SU_SU_NSC_11hip_rocprim7__merge17predicate_wrapperIifNSC_4lessIiEEEEEE10hipError_tPvRmT0_T1_T2_T3_T4_T5_mmT6_P12ihipStream_tbEUlT_E0_NS1_11comp_targetILNS1_3genE0ELNS1_11target_archE4294967295ELNS1_3gpuE0ELNS1_3repE0EEENS1_30default_config_static_selectorELNS0_4arch9wavefront6targetE0EEEvS15_.private_seg_size, 0
	.set _ZN7rocprim17ROCPRIM_400000_NS6detail17trampoline_kernelINS0_14default_configENS1_21merge_config_selectorINS0_5tupleIJifEEENS0_10empty_typeEEEZNS1_10merge_implIS3_NS0_12zip_iteratorINS5_IJN6thrust23THRUST_200600_302600_NS6detail15normal_iteratorINSC_10device_ptrIKiEEEENSE_INSF_IKfEEEEEEEEESN_NSA_INS5_IJNSE_INSF_IiEEEENSE_INSF_IfEEEEEEEEEPS7_SU_SU_NSC_11hip_rocprim7__merge17predicate_wrapperIifNSC_4lessIiEEEEEE10hipError_tPvRmT0_T1_T2_T3_T4_T5_mmT6_P12ihipStream_tbEUlT_E0_NS1_11comp_targetILNS1_3genE0ELNS1_11target_archE4294967295ELNS1_3gpuE0ELNS1_3repE0EEENS1_30default_config_static_selectorELNS0_4arch9wavefront6targetE0EEEvS15_.uses_vcc, 0
	.set _ZN7rocprim17ROCPRIM_400000_NS6detail17trampoline_kernelINS0_14default_configENS1_21merge_config_selectorINS0_5tupleIJifEEENS0_10empty_typeEEEZNS1_10merge_implIS3_NS0_12zip_iteratorINS5_IJN6thrust23THRUST_200600_302600_NS6detail15normal_iteratorINSC_10device_ptrIKiEEEENSE_INSF_IKfEEEEEEEEESN_NSA_INS5_IJNSE_INSF_IiEEEENSE_INSF_IfEEEEEEEEEPS7_SU_SU_NSC_11hip_rocprim7__merge17predicate_wrapperIifNSC_4lessIiEEEEEE10hipError_tPvRmT0_T1_T2_T3_T4_T5_mmT6_P12ihipStream_tbEUlT_E0_NS1_11comp_targetILNS1_3genE0ELNS1_11target_archE4294967295ELNS1_3gpuE0ELNS1_3repE0EEENS1_30default_config_static_selectorELNS0_4arch9wavefront6targetE0EEEvS15_.uses_flat_scratch, 0
	.set _ZN7rocprim17ROCPRIM_400000_NS6detail17trampoline_kernelINS0_14default_configENS1_21merge_config_selectorINS0_5tupleIJifEEENS0_10empty_typeEEEZNS1_10merge_implIS3_NS0_12zip_iteratorINS5_IJN6thrust23THRUST_200600_302600_NS6detail15normal_iteratorINSC_10device_ptrIKiEEEENSE_INSF_IKfEEEEEEEEESN_NSA_INS5_IJNSE_INSF_IiEEEENSE_INSF_IfEEEEEEEEEPS7_SU_SU_NSC_11hip_rocprim7__merge17predicate_wrapperIifNSC_4lessIiEEEEEE10hipError_tPvRmT0_T1_T2_T3_T4_T5_mmT6_P12ihipStream_tbEUlT_E0_NS1_11comp_targetILNS1_3genE0ELNS1_11target_archE4294967295ELNS1_3gpuE0ELNS1_3repE0EEENS1_30default_config_static_selectorELNS0_4arch9wavefront6targetE0EEEvS15_.has_dyn_sized_stack, 0
	.set _ZN7rocprim17ROCPRIM_400000_NS6detail17trampoline_kernelINS0_14default_configENS1_21merge_config_selectorINS0_5tupleIJifEEENS0_10empty_typeEEEZNS1_10merge_implIS3_NS0_12zip_iteratorINS5_IJN6thrust23THRUST_200600_302600_NS6detail15normal_iteratorINSC_10device_ptrIKiEEEENSE_INSF_IKfEEEEEEEEESN_NSA_INS5_IJNSE_INSF_IiEEEENSE_INSF_IfEEEEEEEEEPS7_SU_SU_NSC_11hip_rocprim7__merge17predicate_wrapperIifNSC_4lessIiEEEEEE10hipError_tPvRmT0_T1_T2_T3_T4_T5_mmT6_P12ihipStream_tbEUlT_E0_NS1_11comp_targetILNS1_3genE0ELNS1_11target_archE4294967295ELNS1_3gpuE0ELNS1_3repE0EEENS1_30default_config_static_selectorELNS0_4arch9wavefront6targetE0EEEvS15_.has_recursion, 0
	.set _ZN7rocprim17ROCPRIM_400000_NS6detail17trampoline_kernelINS0_14default_configENS1_21merge_config_selectorINS0_5tupleIJifEEENS0_10empty_typeEEEZNS1_10merge_implIS3_NS0_12zip_iteratorINS5_IJN6thrust23THRUST_200600_302600_NS6detail15normal_iteratorINSC_10device_ptrIKiEEEENSE_INSF_IKfEEEEEEEEESN_NSA_INS5_IJNSE_INSF_IiEEEENSE_INSF_IfEEEEEEEEEPS7_SU_SU_NSC_11hip_rocprim7__merge17predicate_wrapperIifNSC_4lessIiEEEEEE10hipError_tPvRmT0_T1_T2_T3_T4_T5_mmT6_P12ihipStream_tbEUlT_E0_NS1_11comp_targetILNS1_3genE0ELNS1_11target_archE4294967295ELNS1_3gpuE0ELNS1_3repE0EEENS1_30default_config_static_selectorELNS0_4arch9wavefront6targetE0EEEvS15_.has_indirect_call, 0
	.section	.AMDGPU.csdata,"",@progbits
; Kernel info:
; codeLenInByte = 0
; TotalNumSgprs: 0
; NumVgprs: 0
; ScratchSize: 0
; MemoryBound: 0
; FloatMode: 240
; IeeeMode: 1
; LDSByteSize: 0 bytes/workgroup (compile time only)
; SGPRBlocks: 0
; VGPRBlocks: 0
; NumSGPRsForWavesPerEU: 1
; NumVGPRsForWavesPerEU: 1
; Occupancy: 16
; WaveLimiterHint : 0
; COMPUTE_PGM_RSRC2:SCRATCH_EN: 0
; COMPUTE_PGM_RSRC2:USER_SGPR: 6
; COMPUTE_PGM_RSRC2:TRAP_HANDLER: 0
; COMPUTE_PGM_RSRC2:TGID_X_EN: 1
; COMPUTE_PGM_RSRC2:TGID_Y_EN: 0
; COMPUTE_PGM_RSRC2:TGID_Z_EN: 0
; COMPUTE_PGM_RSRC2:TIDIG_COMP_CNT: 0
	.section	.text._ZN7rocprim17ROCPRIM_400000_NS6detail17trampoline_kernelINS0_14default_configENS1_21merge_config_selectorINS0_5tupleIJifEEENS0_10empty_typeEEEZNS1_10merge_implIS3_NS0_12zip_iteratorINS5_IJN6thrust23THRUST_200600_302600_NS6detail15normal_iteratorINSC_10device_ptrIKiEEEENSE_INSF_IKfEEEEEEEEESN_NSA_INS5_IJNSE_INSF_IiEEEENSE_INSF_IfEEEEEEEEEPS7_SU_SU_NSC_11hip_rocprim7__merge17predicate_wrapperIifNSC_4lessIiEEEEEE10hipError_tPvRmT0_T1_T2_T3_T4_T5_mmT6_P12ihipStream_tbEUlT_E0_NS1_11comp_targetILNS1_3genE5ELNS1_11target_archE942ELNS1_3gpuE9ELNS1_3repE0EEENS1_30default_config_static_selectorELNS0_4arch9wavefront6targetE0EEEvS15_,"axG",@progbits,_ZN7rocprim17ROCPRIM_400000_NS6detail17trampoline_kernelINS0_14default_configENS1_21merge_config_selectorINS0_5tupleIJifEEENS0_10empty_typeEEEZNS1_10merge_implIS3_NS0_12zip_iteratorINS5_IJN6thrust23THRUST_200600_302600_NS6detail15normal_iteratorINSC_10device_ptrIKiEEEENSE_INSF_IKfEEEEEEEEESN_NSA_INS5_IJNSE_INSF_IiEEEENSE_INSF_IfEEEEEEEEEPS7_SU_SU_NSC_11hip_rocprim7__merge17predicate_wrapperIifNSC_4lessIiEEEEEE10hipError_tPvRmT0_T1_T2_T3_T4_T5_mmT6_P12ihipStream_tbEUlT_E0_NS1_11comp_targetILNS1_3genE5ELNS1_11target_archE942ELNS1_3gpuE9ELNS1_3repE0EEENS1_30default_config_static_selectorELNS0_4arch9wavefront6targetE0EEEvS15_,comdat
	.protected	_ZN7rocprim17ROCPRIM_400000_NS6detail17trampoline_kernelINS0_14default_configENS1_21merge_config_selectorINS0_5tupleIJifEEENS0_10empty_typeEEEZNS1_10merge_implIS3_NS0_12zip_iteratorINS5_IJN6thrust23THRUST_200600_302600_NS6detail15normal_iteratorINSC_10device_ptrIKiEEEENSE_INSF_IKfEEEEEEEEESN_NSA_INS5_IJNSE_INSF_IiEEEENSE_INSF_IfEEEEEEEEEPS7_SU_SU_NSC_11hip_rocprim7__merge17predicate_wrapperIifNSC_4lessIiEEEEEE10hipError_tPvRmT0_T1_T2_T3_T4_T5_mmT6_P12ihipStream_tbEUlT_E0_NS1_11comp_targetILNS1_3genE5ELNS1_11target_archE942ELNS1_3gpuE9ELNS1_3repE0EEENS1_30default_config_static_selectorELNS0_4arch9wavefront6targetE0EEEvS15_ ; -- Begin function _ZN7rocprim17ROCPRIM_400000_NS6detail17trampoline_kernelINS0_14default_configENS1_21merge_config_selectorINS0_5tupleIJifEEENS0_10empty_typeEEEZNS1_10merge_implIS3_NS0_12zip_iteratorINS5_IJN6thrust23THRUST_200600_302600_NS6detail15normal_iteratorINSC_10device_ptrIKiEEEENSE_INSF_IKfEEEEEEEEESN_NSA_INS5_IJNSE_INSF_IiEEEENSE_INSF_IfEEEEEEEEEPS7_SU_SU_NSC_11hip_rocprim7__merge17predicate_wrapperIifNSC_4lessIiEEEEEE10hipError_tPvRmT0_T1_T2_T3_T4_T5_mmT6_P12ihipStream_tbEUlT_E0_NS1_11comp_targetILNS1_3genE5ELNS1_11target_archE942ELNS1_3gpuE9ELNS1_3repE0EEENS1_30default_config_static_selectorELNS0_4arch9wavefront6targetE0EEEvS15_
	.globl	_ZN7rocprim17ROCPRIM_400000_NS6detail17trampoline_kernelINS0_14default_configENS1_21merge_config_selectorINS0_5tupleIJifEEENS0_10empty_typeEEEZNS1_10merge_implIS3_NS0_12zip_iteratorINS5_IJN6thrust23THRUST_200600_302600_NS6detail15normal_iteratorINSC_10device_ptrIKiEEEENSE_INSF_IKfEEEEEEEEESN_NSA_INS5_IJNSE_INSF_IiEEEENSE_INSF_IfEEEEEEEEEPS7_SU_SU_NSC_11hip_rocprim7__merge17predicate_wrapperIifNSC_4lessIiEEEEEE10hipError_tPvRmT0_T1_T2_T3_T4_T5_mmT6_P12ihipStream_tbEUlT_E0_NS1_11comp_targetILNS1_3genE5ELNS1_11target_archE942ELNS1_3gpuE9ELNS1_3repE0EEENS1_30default_config_static_selectorELNS0_4arch9wavefront6targetE0EEEvS15_
	.p2align	8
	.type	_ZN7rocprim17ROCPRIM_400000_NS6detail17trampoline_kernelINS0_14default_configENS1_21merge_config_selectorINS0_5tupleIJifEEENS0_10empty_typeEEEZNS1_10merge_implIS3_NS0_12zip_iteratorINS5_IJN6thrust23THRUST_200600_302600_NS6detail15normal_iteratorINSC_10device_ptrIKiEEEENSE_INSF_IKfEEEEEEEEESN_NSA_INS5_IJNSE_INSF_IiEEEENSE_INSF_IfEEEEEEEEEPS7_SU_SU_NSC_11hip_rocprim7__merge17predicate_wrapperIifNSC_4lessIiEEEEEE10hipError_tPvRmT0_T1_T2_T3_T4_T5_mmT6_P12ihipStream_tbEUlT_E0_NS1_11comp_targetILNS1_3genE5ELNS1_11target_archE942ELNS1_3gpuE9ELNS1_3repE0EEENS1_30default_config_static_selectorELNS0_4arch9wavefront6targetE0EEEvS15_,@function
_ZN7rocprim17ROCPRIM_400000_NS6detail17trampoline_kernelINS0_14default_configENS1_21merge_config_selectorINS0_5tupleIJifEEENS0_10empty_typeEEEZNS1_10merge_implIS3_NS0_12zip_iteratorINS5_IJN6thrust23THRUST_200600_302600_NS6detail15normal_iteratorINSC_10device_ptrIKiEEEENSE_INSF_IKfEEEEEEEEESN_NSA_INS5_IJNSE_INSF_IiEEEENSE_INSF_IfEEEEEEEEEPS7_SU_SU_NSC_11hip_rocprim7__merge17predicate_wrapperIifNSC_4lessIiEEEEEE10hipError_tPvRmT0_T1_T2_T3_T4_T5_mmT6_P12ihipStream_tbEUlT_E0_NS1_11comp_targetILNS1_3genE5ELNS1_11target_archE942ELNS1_3gpuE9ELNS1_3repE0EEENS1_30default_config_static_selectorELNS0_4arch9wavefront6targetE0EEEvS15_: ; @_ZN7rocprim17ROCPRIM_400000_NS6detail17trampoline_kernelINS0_14default_configENS1_21merge_config_selectorINS0_5tupleIJifEEENS0_10empty_typeEEEZNS1_10merge_implIS3_NS0_12zip_iteratorINS5_IJN6thrust23THRUST_200600_302600_NS6detail15normal_iteratorINSC_10device_ptrIKiEEEENSE_INSF_IKfEEEEEEEEESN_NSA_INS5_IJNSE_INSF_IiEEEENSE_INSF_IfEEEEEEEEEPS7_SU_SU_NSC_11hip_rocprim7__merge17predicate_wrapperIifNSC_4lessIiEEEEEE10hipError_tPvRmT0_T1_T2_T3_T4_T5_mmT6_P12ihipStream_tbEUlT_E0_NS1_11comp_targetILNS1_3genE5ELNS1_11target_archE942ELNS1_3gpuE9ELNS1_3repE0EEENS1_30default_config_static_selectorELNS0_4arch9wavefront6targetE0EEEvS15_
; %bb.0:
	.section	.rodata,"a",@progbits
	.p2align	6, 0x0
	.amdhsa_kernel _ZN7rocprim17ROCPRIM_400000_NS6detail17trampoline_kernelINS0_14default_configENS1_21merge_config_selectorINS0_5tupleIJifEEENS0_10empty_typeEEEZNS1_10merge_implIS3_NS0_12zip_iteratorINS5_IJN6thrust23THRUST_200600_302600_NS6detail15normal_iteratorINSC_10device_ptrIKiEEEENSE_INSF_IKfEEEEEEEEESN_NSA_INS5_IJNSE_INSF_IiEEEENSE_INSF_IfEEEEEEEEEPS7_SU_SU_NSC_11hip_rocprim7__merge17predicate_wrapperIifNSC_4lessIiEEEEEE10hipError_tPvRmT0_T1_T2_T3_T4_T5_mmT6_P12ihipStream_tbEUlT_E0_NS1_11comp_targetILNS1_3genE5ELNS1_11target_archE942ELNS1_3gpuE9ELNS1_3repE0EEENS1_30default_config_static_selectorELNS0_4arch9wavefront6targetE0EEEvS15_
		.amdhsa_group_segment_fixed_size 0
		.amdhsa_private_segment_fixed_size 0
		.amdhsa_kernarg_size 112
		.amdhsa_user_sgpr_count 6
		.amdhsa_user_sgpr_private_segment_buffer 1
		.amdhsa_user_sgpr_dispatch_ptr 0
		.amdhsa_user_sgpr_queue_ptr 0
		.amdhsa_user_sgpr_kernarg_segment_ptr 1
		.amdhsa_user_sgpr_dispatch_id 0
		.amdhsa_user_sgpr_flat_scratch_init 0
		.amdhsa_user_sgpr_private_segment_size 0
		.amdhsa_wavefront_size32 1
		.amdhsa_uses_dynamic_stack 0
		.amdhsa_system_sgpr_private_segment_wavefront_offset 0
		.amdhsa_system_sgpr_workgroup_id_x 1
		.amdhsa_system_sgpr_workgroup_id_y 0
		.amdhsa_system_sgpr_workgroup_id_z 0
		.amdhsa_system_sgpr_workgroup_info 0
		.amdhsa_system_vgpr_workitem_id 0
		.amdhsa_next_free_vgpr 1
		.amdhsa_next_free_sgpr 1
		.amdhsa_reserve_vcc 0
		.amdhsa_reserve_flat_scratch 0
		.amdhsa_float_round_mode_32 0
		.amdhsa_float_round_mode_16_64 0
		.amdhsa_float_denorm_mode_32 3
		.amdhsa_float_denorm_mode_16_64 3
		.amdhsa_dx10_clamp 1
		.amdhsa_ieee_mode 1
		.amdhsa_fp16_overflow 0
		.amdhsa_workgroup_processor_mode 1
		.amdhsa_memory_ordered 1
		.amdhsa_forward_progress 1
		.amdhsa_shared_vgpr_count 0
		.amdhsa_exception_fp_ieee_invalid_op 0
		.amdhsa_exception_fp_denorm_src 0
		.amdhsa_exception_fp_ieee_div_zero 0
		.amdhsa_exception_fp_ieee_overflow 0
		.amdhsa_exception_fp_ieee_underflow 0
		.amdhsa_exception_fp_ieee_inexact 0
		.amdhsa_exception_int_div_zero 0
	.end_amdhsa_kernel
	.section	.text._ZN7rocprim17ROCPRIM_400000_NS6detail17trampoline_kernelINS0_14default_configENS1_21merge_config_selectorINS0_5tupleIJifEEENS0_10empty_typeEEEZNS1_10merge_implIS3_NS0_12zip_iteratorINS5_IJN6thrust23THRUST_200600_302600_NS6detail15normal_iteratorINSC_10device_ptrIKiEEEENSE_INSF_IKfEEEEEEEEESN_NSA_INS5_IJNSE_INSF_IiEEEENSE_INSF_IfEEEEEEEEEPS7_SU_SU_NSC_11hip_rocprim7__merge17predicate_wrapperIifNSC_4lessIiEEEEEE10hipError_tPvRmT0_T1_T2_T3_T4_T5_mmT6_P12ihipStream_tbEUlT_E0_NS1_11comp_targetILNS1_3genE5ELNS1_11target_archE942ELNS1_3gpuE9ELNS1_3repE0EEENS1_30default_config_static_selectorELNS0_4arch9wavefront6targetE0EEEvS15_,"axG",@progbits,_ZN7rocprim17ROCPRIM_400000_NS6detail17trampoline_kernelINS0_14default_configENS1_21merge_config_selectorINS0_5tupleIJifEEENS0_10empty_typeEEEZNS1_10merge_implIS3_NS0_12zip_iteratorINS5_IJN6thrust23THRUST_200600_302600_NS6detail15normal_iteratorINSC_10device_ptrIKiEEEENSE_INSF_IKfEEEEEEEEESN_NSA_INS5_IJNSE_INSF_IiEEEENSE_INSF_IfEEEEEEEEEPS7_SU_SU_NSC_11hip_rocprim7__merge17predicate_wrapperIifNSC_4lessIiEEEEEE10hipError_tPvRmT0_T1_T2_T3_T4_T5_mmT6_P12ihipStream_tbEUlT_E0_NS1_11comp_targetILNS1_3genE5ELNS1_11target_archE942ELNS1_3gpuE9ELNS1_3repE0EEENS1_30default_config_static_selectorELNS0_4arch9wavefront6targetE0EEEvS15_,comdat
.Lfunc_end12:
	.size	_ZN7rocprim17ROCPRIM_400000_NS6detail17trampoline_kernelINS0_14default_configENS1_21merge_config_selectorINS0_5tupleIJifEEENS0_10empty_typeEEEZNS1_10merge_implIS3_NS0_12zip_iteratorINS5_IJN6thrust23THRUST_200600_302600_NS6detail15normal_iteratorINSC_10device_ptrIKiEEEENSE_INSF_IKfEEEEEEEEESN_NSA_INS5_IJNSE_INSF_IiEEEENSE_INSF_IfEEEEEEEEEPS7_SU_SU_NSC_11hip_rocprim7__merge17predicate_wrapperIifNSC_4lessIiEEEEEE10hipError_tPvRmT0_T1_T2_T3_T4_T5_mmT6_P12ihipStream_tbEUlT_E0_NS1_11comp_targetILNS1_3genE5ELNS1_11target_archE942ELNS1_3gpuE9ELNS1_3repE0EEENS1_30default_config_static_selectorELNS0_4arch9wavefront6targetE0EEEvS15_, .Lfunc_end12-_ZN7rocprim17ROCPRIM_400000_NS6detail17trampoline_kernelINS0_14default_configENS1_21merge_config_selectorINS0_5tupleIJifEEENS0_10empty_typeEEEZNS1_10merge_implIS3_NS0_12zip_iteratorINS5_IJN6thrust23THRUST_200600_302600_NS6detail15normal_iteratorINSC_10device_ptrIKiEEEENSE_INSF_IKfEEEEEEEEESN_NSA_INS5_IJNSE_INSF_IiEEEENSE_INSF_IfEEEEEEEEEPS7_SU_SU_NSC_11hip_rocprim7__merge17predicate_wrapperIifNSC_4lessIiEEEEEE10hipError_tPvRmT0_T1_T2_T3_T4_T5_mmT6_P12ihipStream_tbEUlT_E0_NS1_11comp_targetILNS1_3genE5ELNS1_11target_archE942ELNS1_3gpuE9ELNS1_3repE0EEENS1_30default_config_static_selectorELNS0_4arch9wavefront6targetE0EEEvS15_
                                        ; -- End function
	.set _ZN7rocprim17ROCPRIM_400000_NS6detail17trampoline_kernelINS0_14default_configENS1_21merge_config_selectorINS0_5tupleIJifEEENS0_10empty_typeEEEZNS1_10merge_implIS3_NS0_12zip_iteratorINS5_IJN6thrust23THRUST_200600_302600_NS6detail15normal_iteratorINSC_10device_ptrIKiEEEENSE_INSF_IKfEEEEEEEEESN_NSA_INS5_IJNSE_INSF_IiEEEENSE_INSF_IfEEEEEEEEEPS7_SU_SU_NSC_11hip_rocprim7__merge17predicate_wrapperIifNSC_4lessIiEEEEEE10hipError_tPvRmT0_T1_T2_T3_T4_T5_mmT6_P12ihipStream_tbEUlT_E0_NS1_11comp_targetILNS1_3genE5ELNS1_11target_archE942ELNS1_3gpuE9ELNS1_3repE0EEENS1_30default_config_static_selectorELNS0_4arch9wavefront6targetE0EEEvS15_.num_vgpr, 0
	.set _ZN7rocprim17ROCPRIM_400000_NS6detail17trampoline_kernelINS0_14default_configENS1_21merge_config_selectorINS0_5tupleIJifEEENS0_10empty_typeEEEZNS1_10merge_implIS3_NS0_12zip_iteratorINS5_IJN6thrust23THRUST_200600_302600_NS6detail15normal_iteratorINSC_10device_ptrIKiEEEENSE_INSF_IKfEEEEEEEEESN_NSA_INS5_IJNSE_INSF_IiEEEENSE_INSF_IfEEEEEEEEEPS7_SU_SU_NSC_11hip_rocprim7__merge17predicate_wrapperIifNSC_4lessIiEEEEEE10hipError_tPvRmT0_T1_T2_T3_T4_T5_mmT6_P12ihipStream_tbEUlT_E0_NS1_11comp_targetILNS1_3genE5ELNS1_11target_archE942ELNS1_3gpuE9ELNS1_3repE0EEENS1_30default_config_static_selectorELNS0_4arch9wavefront6targetE0EEEvS15_.num_agpr, 0
	.set _ZN7rocprim17ROCPRIM_400000_NS6detail17trampoline_kernelINS0_14default_configENS1_21merge_config_selectorINS0_5tupleIJifEEENS0_10empty_typeEEEZNS1_10merge_implIS3_NS0_12zip_iteratorINS5_IJN6thrust23THRUST_200600_302600_NS6detail15normal_iteratorINSC_10device_ptrIKiEEEENSE_INSF_IKfEEEEEEEEESN_NSA_INS5_IJNSE_INSF_IiEEEENSE_INSF_IfEEEEEEEEEPS7_SU_SU_NSC_11hip_rocprim7__merge17predicate_wrapperIifNSC_4lessIiEEEEEE10hipError_tPvRmT0_T1_T2_T3_T4_T5_mmT6_P12ihipStream_tbEUlT_E0_NS1_11comp_targetILNS1_3genE5ELNS1_11target_archE942ELNS1_3gpuE9ELNS1_3repE0EEENS1_30default_config_static_selectorELNS0_4arch9wavefront6targetE0EEEvS15_.numbered_sgpr, 0
	.set _ZN7rocprim17ROCPRIM_400000_NS6detail17trampoline_kernelINS0_14default_configENS1_21merge_config_selectorINS0_5tupleIJifEEENS0_10empty_typeEEEZNS1_10merge_implIS3_NS0_12zip_iteratorINS5_IJN6thrust23THRUST_200600_302600_NS6detail15normal_iteratorINSC_10device_ptrIKiEEEENSE_INSF_IKfEEEEEEEEESN_NSA_INS5_IJNSE_INSF_IiEEEENSE_INSF_IfEEEEEEEEEPS7_SU_SU_NSC_11hip_rocprim7__merge17predicate_wrapperIifNSC_4lessIiEEEEEE10hipError_tPvRmT0_T1_T2_T3_T4_T5_mmT6_P12ihipStream_tbEUlT_E0_NS1_11comp_targetILNS1_3genE5ELNS1_11target_archE942ELNS1_3gpuE9ELNS1_3repE0EEENS1_30default_config_static_selectorELNS0_4arch9wavefront6targetE0EEEvS15_.num_named_barrier, 0
	.set _ZN7rocprim17ROCPRIM_400000_NS6detail17trampoline_kernelINS0_14default_configENS1_21merge_config_selectorINS0_5tupleIJifEEENS0_10empty_typeEEEZNS1_10merge_implIS3_NS0_12zip_iteratorINS5_IJN6thrust23THRUST_200600_302600_NS6detail15normal_iteratorINSC_10device_ptrIKiEEEENSE_INSF_IKfEEEEEEEEESN_NSA_INS5_IJNSE_INSF_IiEEEENSE_INSF_IfEEEEEEEEEPS7_SU_SU_NSC_11hip_rocprim7__merge17predicate_wrapperIifNSC_4lessIiEEEEEE10hipError_tPvRmT0_T1_T2_T3_T4_T5_mmT6_P12ihipStream_tbEUlT_E0_NS1_11comp_targetILNS1_3genE5ELNS1_11target_archE942ELNS1_3gpuE9ELNS1_3repE0EEENS1_30default_config_static_selectorELNS0_4arch9wavefront6targetE0EEEvS15_.private_seg_size, 0
	.set _ZN7rocprim17ROCPRIM_400000_NS6detail17trampoline_kernelINS0_14default_configENS1_21merge_config_selectorINS0_5tupleIJifEEENS0_10empty_typeEEEZNS1_10merge_implIS3_NS0_12zip_iteratorINS5_IJN6thrust23THRUST_200600_302600_NS6detail15normal_iteratorINSC_10device_ptrIKiEEEENSE_INSF_IKfEEEEEEEEESN_NSA_INS5_IJNSE_INSF_IiEEEENSE_INSF_IfEEEEEEEEEPS7_SU_SU_NSC_11hip_rocprim7__merge17predicate_wrapperIifNSC_4lessIiEEEEEE10hipError_tPvRmT0_T1_T2_T3_T4_T5_mmT6_P12ihipStream_tbEUlT_E0_NS1_11comp_targetILNS1_3genE5ELNS1_11target_archE942ELNS1_3gpuE9ELNS1_3repE0EEENS1_30default_config_static_selectorELNS0_4arch9wavefront6targetE0EEEvS15_.uses_vcc, 0
	.set _ZN7rocprim17ROCPRIM_400000_NS6detail17trampoline_kernelINS0_14default_configENS1_21merge_config_selectorINS0_5tupleIJifEEENS0_10empty_typeEEEZNS1_10merge_implIS3_NS0_12zip_iteratorINS5_IJN6thrust23THRUST_200600_302600_NS6detail15normal_iteratorINSC_10device_ptrIKiEEEENSE_INSF_IKfEEEEEEEEESN_NSA_INS5_IJNSE_INSF_IiEEEENSE_INSF_IfEEEEEEEEEPS7_SU_SU_NSC_11hip_rocprim7__merge17predicate_wrapperIifNSC_4lessIiEEEEEE10hipError_tPvRmT0_T1_T2_T3_T4_T5_mmT6_P12ihipStream_tbEUlT_E0_NS1_11comp_targetILNS1_3genE5ELNS1_11target_archE942ELNS1_3gpuE9ELNS1_3repE0EEENS1_30default_config_static_selectorELNS0_4arch9wavefront6targetE0EEEvS15_.uses_flat_scratch, 0
	.set _ZN7rocprim17ROCPRIM_400000_NS6detail17trampoline_kernelINS0_14default_configENS1_21merge_config_selectorINS0_5tupleIJifEEENS0_10empty_typeEEEZNS1_10merge_implIS3_NS0_12zip_iteratorINS5_IJN6thrust23THRUST_200600_302600_NS6detail15normal_iteratorINSC_10device_ptrIKiEEEENSE_INSF_IKfEEEEEEEEESN_NSA_INS5_IJNSE_INSF_IiEEEENSE_INSF_IfEEEEEEEEEPS7_SU_SU_NSC_11hip_rocprim7__merge17predicate_wrapperIifNSC_4lessIiEEEEEE10hipError_tPvRmT0_T1_T2_T3_T4_T5_mmT6_P12ihipStream_tbEUlT_E0_NS1_11comp_targetILNS1_3genE5ELNS1_11target_archE942ELNS1_3gpuE9ELNS1_3repE0EEENS1_30default_config_static_selectorELNS0_4arch9wavefront6targetE0EEEvS15_.has_dyn_sized_stack, 0
	.set _ZN7rocprim17ROCPRIM_400000_NS6detail17trampoline_kernelINS0_14default_configENS1_21merge_config_selectorINS0_5tupleIJifEEENS0_10empty_typeEEEZNS1_10merge_implIS3_NS0_12zip_iteratorINS5_IJN6thrust23THRUST_200600_302600_NS6detail15normal_iteratorINSC_10device_ptrIKiEEEENSE_INSF_IKfEEEEEEEEESN_NSA_INS5_IJNSE_INSF_IiEEEENSE_INSF_IfEEEEEEEEEPS7_SU_SU_NSC_11hip_rocprim7__merge17predicate_wrapperIifNSC_4lessIiEEEEEE10hipError_tPvRmT0_T1_T2_T3_T4_T5_mmT6_P12ihipStream_tbEUlT_E0_NS1_11comp_targetILNS1_3genE5ELNS1_11target_archE942ELNS1_3gpuE9ELNS1_3repE0EEENS1_30default_config_static_selectorELNS0_4arch9wavefront6targetE0EEEvS15_.has_recursion, 0
	.set _ZN7rocprim17ROCPRIM_400000_NS6detail17trampoline_kernelINS0_14default_configENS1_21merge_config_selectorINS0_5tupleIJifEEENS0_10empty_typeEEEZNS1_10merge_implIS3_NS0_12zip_iteratorINS5_IJN6thrust23THRUST_200600_302600_NS6detail15normal_iteratorINSC_10device_ptrIKiEEEENSE_INSF_IKfEEEEEEEEESN_NSA_INS5_IJNSE_INSF_IiEEEENSE_INSF_IfEEEEEEEEEPS7_SU_SU_NSC_11hip_rocprim7__merge17predicate_wrapperIifNSC_4lessIiEEEEEE10hipError_tPvRmT0_T1_T2_T3_T4_T5_mmT6_P12ihipStream_tbEUlT_E0_NS1_11comp_targetILNS1_3genE5ELNS1_11target_archE942ELNS1_3gpuE9ELNS1_3repE0EEENS1_30default_config_static_selectorELNS0_4arch9wavefront6targetE0EEEvS15_.has_indirect_call, 0
	.section	.AMDGPU.csdata,"",@progbits
; Kernel info:
; codeLenInByte = 0
; TotalNumSgprs: 0
; NumVgprs: 0
; ScratchSize: 0
; MemoryBound: 0
; FloatMode: 240
; IeeeMode: 1
; LDSByteSize: 0 bytes/workgroup (compile time only)
; SGPRBlocks: 0
; VGPRBlocks: 0
; NumSGPRsForWavesPerEU: 1
; NumVGPRsForWavesPerEU: 1
; Occupancy: 16
; WaveLimiterHint : 0
; COMPUTE_PGM_RSRC2:SCRATCH_EN: 0
; COMPUTE_PGM_RSRC2:USER_SGPR: 6
; COMPUTE_PGM_RSRC2:TRAP_HANDLER: 0
; COMPUTE_PGM_RSRC2:TGID_X_EN: 1
; COMPUTE_PGM_RSRC2:TGID_Y_EN: 0
; COMPUTE_PGM_RSRC2:TGID_Z_EN: 0
; COMPUTE_PGM_RSRC2:TIDIG_COMP_CNT: 0
	.section	.text._ZN7rocprim17ROCPRIM_400000_NS6detail17trampoline_kernelINS0_14default_configENS1_21merge_config_selectorINS0_5tupleIJifEEENS0_10empty_typeEEEZNS1_10merge_implIS3_NS0_12zip_iteratorINS5_IJN6thrust23THRUST_200600_302600_NS6detail15normal_iteratorINSC_10device_ptrIKiEEEENSE_INSF_IKfEEEEEEEEESN_NSA_INS5_IJNSE_INSF_IiEEEENSE_INSF_IfEEEEEEEEEPS7_SU_SU_NSC_11hip_rocprim7__merge17predicate_wrapperIifNSC_4lessIiEEEEEE10hipError_tPvRmT0_T1_T2_T3_T4_T5_mmT6_P12ihipStream_tbEUlT_E0_NS1_11comp_targetILNS1_3genE4ELNS1_11target_archE910ELNS1_3gpuE8ELNS1_3repE0EEENS1_30default_config_static_selectorELNS0_4arch9wavefront6targetE0EEEvS15_,"axG",@progbits,_ZN7rocprim17ROCPRIM_400000_NS6detail17trampoline_kernelINS0_14default_configENS1_21merge_config_selectorINS0_5tupleIJifEEENS0_10empty_typeEEEZNS1_10merge_implIS3_NS0_12zip_iteratorINS5_IJN6thrust23THRUST_200600_302600_NS6detail15normal_iteratorINSC_10device_ptrIKiEEEENSE_INSF_IKfEEEEEEEEESN_NSA_INS5_IJNSE_INSF_IiEEEENSE_INSF_IfEEEEEEEEEPS7_SU_SU_NSC_11hip_rocprim7__merge17predicate_wrapperIifNSC_4lessIiEEEEEE10hipError_tPvRmT0_T1_T2_T3_T4_T5_mmT6_P12ihipStream_tbEUlT_E0_NS1_11comp_targetILNS1_3genE4ELNS1_11target_archE910ELNS1_3gpuE8ELNS1_3repE0EEENS1_30default_config_static_selectorELNS0_4arch9wavefront6targetE0EEEvS15_,comdat
	.protected	_ZN7rocprim17ROCPRIM_400000_NS6detail17trampoline_kernelINS0_14default_configENS1_21merge_config_selectorINS0_5tupleIJifEEENS0_10empty_typeEEEZNS1_10merge_implIS3_NS0_12zip_iteratorINS5_IJN6thrust23THRUST_200600_302600_NS6detail15normal_iteratorINSC_10device_ptrIKiEEEENSE_INSF_IKfEEEEEEEEESN_NSA_INS5_IJNSE_INSF_IiEEEENSE_INSF_IfEEEEEEEEEPS7_SU_SU_NSC_11hip_rocprim7__merge17predicate_wrapperIifNSC_4lessIiEEEEEE10hipError_tPvRmT0_T1_T2_T3_T4_T5_mmT6_P12ihipStream_tbEUlT_E0_NS1_11comp_targetILNS1_3genE4ELNS1_11target_archE910ELNS1_3gpuE8ELNS1_3repE0EEENS1_30default_config_static_selectorELNS0_4arch9wavefront6targetE0EEEvS15_ ; -- Begin function _ZN7rocprim17ROCPRIM_400000_NS6detail17trampoline_kernelINS0_14default_configENS1_21merge_config_selectorINS0_5tupleIJifEEENS0_10empty_typeEEEZNS1_10merge_implIS3_NS0_12zip_iteratorINS5_IJN6thrust23THRUST_200600_302600_NS6detail15normal_iteratorINSC_10device_ptrIKiEEEENSE_INSF_IKfEEEEEEEEESN_NSA_INS5_IJNSE_INSF_IiEEEENSE_INSF_IfEEEEEEEEEPS7_SU_SU_NSC_11hip_rocprim7__merge17predicate_wrapperIifNSC_4lessIiEEEEEE10hipError_tPvRmT0_T1_T2_T3_T4_T5_mmT6_P12ihipStream_tbEUlT_E0_NS1_11comp_targetILNS1_3genE4ELNS1_11target_archE910ELNS1_3gpuE8ELNS1_3repE0EEENS1_30default_config_static_selectorELNS0_4arch9wavefront6targetE0EEEvS15_
	.globl	_ZN7rocprim17ROCPRIM_400000_NS6detail17trampoline_kernelINS0_14default_configENS1_21merge_config_selectorINS0_5tupleIJifEEENS0_10empty_typeEEEZNS1_10merge_implIS3_NS0_12zip_iteratorINS5_IJN6thrust23THRUST_200600_302600_NS6detail15normal_iteratorINSC_10device_ptrIKiEEEENSE_INSF_IKfEEEEEEEEESN_NSA_INS5_IJNSE_INSF_IiEEEENSE_INSF_IfEEEEEEEEEPS7_SU_SU_NSC_11hip_rocprim7__merge17predicate_wrapperIifNSC_4lessIiEEEEEE10hipError_tPvRmT0_T1_T2_T3_T4_T5_mmT6_P12ihipStream_tbEUlT_E0_NS1_11comp_targetILNS1_3genE4ELNS1_11target_archE910ELNS1_3gpuE8ELNS1_3repE0EEENS1_30default_config_static_selectorELNS0_4arch9wavefront6targetE0EEEvS15_
	.p2align	8
	.type	_ZN7rocprim17ROCPRIM_400000_NS6detail17trampoline_kernelINS0_14default_configENS1_21merge_config_selectorINS0_5tupleIJifEEENS0_10empty_typeEEEZNS1_10merge_implIS3_NS0_12zip_iteratorINS5_IJN6thrust23THRUST_200600_302600_NS6detail15normal_iteratorINSC_10device_ptrIKiEEEENSE_INSF_IKfEEEEEEEEESN_NSA_INS5_IJNSE_INSF_IiEEEENSE_INSF_IfEEEEEEEEEPS7_SU_SU_NSC_11hip_rocprim7__merge17predicate_wrapperIifNSC_4lessIiEEEEEE10hipError_tPvRmT0_T1_T2_T3_T4_T5_mmT6_P12ihipStream_tbEUlT_E0_NS1_11comp_targetILNS1_3genE4ELNS1_11target_archE910ELNS1_3gpuE8ELNS1_3repE0EEENS1_30default_config_static_selectorELNS0_4arch9wavefront6targetE0EEEvS15_,@function
_ZN7rocprim17ROCPRIM_400000_NS6detail17trampoline_kernelINS0_14default_configENS1_21merge_config_selectorINS0_5tupleIJifEEENS0_10empty_typeEEEZNS1_10merge_implIS3_NS0_12zip_iteratorINS5_IJN6thrust23THRUST_200600_302600_NS6detail15normal_iteratorINSC_10device_ptrIKiEEEENSE_INSF_IKfEEEEEEEEESN_NSA_INS5_IJNSE_INSF_IiEEEENSE_INSF_IfEEEEEEEEEPS7_SU_SU_NSC_11hip_rocprim7__merge17predicate_wrapperIifNSC_4lessIiEEEEEE10hipError_tPvRmT0_T1_T2_T3_T4_T5_mmT6_P12ihipStream_tbEUlT_E0_NS1_11comp_targetILNS1_3genE4ELNS1_11target_archE910ELNS1_3gpuE8ELNS1_3repE0EEENS1_30default_config_static_selectorELNS0_4arch9wavefront6targetE0EEEvS15_: ; @_ZN7rocprim17ROCPRIM_400000_NS6detail17trampoline_kernelINS0_14default_configENS1_21merge_config_selectorINS0_5tupleIJifEEENS0_10empty_typeEEEZNS1_10merge_implIS3_NS0_12zip_iteratorINS5_IJN6thrust23THRUST_200600_302600_NS6detail15normal_iteratorINSC_10device_ptrIKiEEEENSE_INSF_IKfEEEEEEEEESN_NSA_INS5_IJNSE_INSF_IiEEEENSE_INSF_IfEEEEEEEEEPS7_SU_SU_NSC_11hip_rocprim7__merge17predicate_wrapperIifNSC_4lessIiEEEEEE10hipError_tPvRmT0_T1_T2_T3_T4_T5_mmT6_P12ihipStream_tbEUlT_E0_NS1_11comp_targetILNS1_3genE4ELNS1_11target_archE910ELNS1_3gpuE8ELNS1_3repE0EEENS1_30default_config_static_selectorELNS0_4arch9wavefront6targetE0EEEvS15_
; %bb.0:
	.section	.rodata,"a",@progbits
	.p2align	6, 0x0
	.amdhsa_kernel _ZN7rocprim17ROCPRIM_400000_NS6detail17trampoline_kernelINS0_14default_configENS1_21merge_config_selectorINS0_5tupleIJifEEENS0_10empty_typeEEEZNS1_10merge_implIS3_NS0_12zip_iteratorINS5_IJN6thrust23THRUST_200600_302600_NS6detail15normal_iteratorINSC_10device_ptrIKiEEEENSE_INSF_IKfEEEEEEEEESN_NSA_INS5_IJNSE_INSF_IiEEEENSE_INSF_IfEEEEEEEEEPS7_SU_SU_NSC_11hip_rocprim7__merge17predicate_wrapperIifNSC_4lessIiEEEEEE10hipError_tPvRmT0_T1_T2_T3_T4_T5_mmT6_P12ihipStream_tbEUlT_E0_NS1_11comp_targetILNS1_3genE4ELNS1_11target_archE910ELNS1_3gpuE8ELNS1_3repE0EEENS1_30default_config_static_selectorELNS0_4arch9wavefront6targetE0EEEvS15_
		.amdhsa_group_segment_fixed_size 0
		.amdhsa_private_segment_fixed_size 0
		.amdhsa_kernarg_size 112
		.amdhsa_user_sgpr_count 6
		.amdhsa_user_sgpr_private_segment_buffer 1
		.amdhsa_user_sgpr_dispatch_ptr 0
		.amdhsa_user_sgpr_queue_ptr 0
		.amdhsa_user_sgpr_kernarg_segment_ptr 1
		.amdhsa_user_sgpr_dispatch_id 0
		.amdhsa_user_sgpr_flat_scratch_init 0
		.amdhsa_user_sgpr_private_segment_size 0
		.amdhsa_wavefront_size32 1
		.amdhsa_uses_dynamic_stack 0
		.amdhsa_system_sgpr_private_segment_wavefront_offset 0
		.amdhsa_system_sgpr_workgroup_id_x 1
		.amdhsa_system_sgpr_workgroup_id_y 0
		.amdhsa_system_sgpr_workgroup_id_z 0
		.amdhsa_system_sgpr_workgroup_info 0
		.amdhsa_system_vgpr_workitem_id 0
		.amdhsa_next_free_vgpr 1
		.amdhsa_next_free_sgpr 1
		.amdhsa_reserve_vcc 0
		.amdhsa_reserve_flat_scratch 0
		.amdhsa_float_round_mode_32 0
		.amdhsa_float_round_mode_16_64 0
		.amdhsa_float_denorm_mode_32 3
		.amdhsa_float_denorm_mode_16_64 3
		.amdhsa_dx10_clamp 1
		.amdhsa_ieee_mode 1
		.amdhsa_fp16_overflow 0
		.amdhsa_workgroup_processor_mode 1
		.amdhsa_memory_ordered 1
		.amdhsa_forward_progress 1
		.amdhsa_shared_vgpr_count 0
		.amdhsa_exception_fp_ieee_invalid_op 0
		.amdhsa_exception_fp_denorm_src 0
		.amdhsa_exception_fp_ieee_div_zero 0
		.amdhsa_exception_fp_ieee_overflow 0
		.amdhsa_exception_fp_ieee_underflow 0
		.amdhsa_exception_fp_ieee_inexact 0
		.amdhsa_exception_int_div_zero 0
	.end_amdhsa_kernel
	.section	.text._ZN7rocprim17ROCPRIM_400000_NS6detail17trampoline_kernelINS0_14default_configENS1_21merge_config_selectorINS0_5tupleIJifEEENS0_10empty_typeEEEZNS1_10merge_implIS3_NS0_12zip_iteratorINS5_IJN6thrust23THRUST_200600_302600_NS6detail15normal_iteratorINSC_10device_ptrIKiEEEENSE_INSF_IKfEEEEEEEEESN_NSA_INS5_IJNSE_INSF_IiEEEENSE_INSF_IfEEEEEEEEEPS7_SU_SU_NSC_11hip_rocprim7__merge17predicate_wrapperIifNSC_4lessIiEEEEEE10hipError_tPvRmT0_T1_T2_T3_T4_T5_mmT6_P12ihipStream_tbEUlT_E0_NS1_11comp_targetILNS1_3genE4ELNS1_11target_archE910ELNS1_3gpuE8ELNS1_3repE0EEENS1_30default_config_static_selectorELNS0_4arch9wavefront6targetE0EEEvS15_,"axG",@progbits,_ZN7rocprim17ROCPRIM_400000_NS6detail17trampoline_kernelINS0_14default_configENS1_21merge_config_selectorINS0_5tupleIJifEEENS0_10empty_typeEEEZNS1_10merge_implIS3_NS0_12zip_iteratorINS5_IJN6thrust23THRUST_200600_302600_NS6detail15normal_iteratorINSC_10device_ptrIKiEEEENSE_INSF_IKfEEEEEEEEESN_NSA_INS5_IJNSE_INSF_IiEEEENSE_INSF_IfEEEEEEEEEPS7_SU_SU_NSC_11hip_rocprim7__merge17predicate_wrapperIifNSC_4lessIiEEEEEE10hipError_tPvRmT0_T1_T2_T3_T4_T5_mmT6_P12ihipStream_tbEUlT_E0_NS1_11comp_targetILNS1_3genE4ELNS1_11target_archE910ELNS1_3gpuE8ELNS1_3repE0EEENS1_30default_config_static_selectorELNS0_4arch9wavefront6targetE0EEEvS15_,comdat
.Lfunc_end13:
	.size	_ZN7rocprim17ROCPRIM_400000_NS6detail17trampoline_kernelINS0_14default_configENS1_21merge_config_selectorINS0_5tupleIJifEEENS0_10empty_typeEEEZNS1_10merge_implIS3_NS0_12zip_iteratorINS5_IJN6thrust23THRUST_200600_302600_NS6detail15normal_iteratorINSC_10device_ptrIKiEEEENSE_INSF_IKfEEEEEEEEESN_NSA_INS5_IJNSE_INSF_IiEEEENSE_INSF_IfEEEEEEEEEPS7_SU_SU_NSC_11hip_rocprim7__merge17predicate_wrapperIifNSC_4lessIiEEEEEE10hipError_tPvRmT0_T1_T2_T3_T4_T5_mmT6_P12ihipStream_tbEUlT_E0_NS1_11comp_targetILNS1_3genE4ELNS1_11target_archE910ELNS1_3gpuE8ELNS1_3repE0EEENS1_30default_config_static_selectorELNS0_4arch9wavefront6targetE0EEEvS15_, .Lfunc_end13-_ZN7rocprim17ROCPRIM_400000_NS6detail17trampoline_kernelINS0_14default_configENS1_21merge_config_selectorINS0_5tupleIJifEEENS0_10empty_typeEEEZNS1_10merge_implIS3_NS0_12zip_iteratorINS5_IJN6thrust23THRUST_200600_302600_NS6detail15normal_iteratorINSC_10device_ptrIKiEEEENSE_INSF_IKfEEEEEEEEESN_NSA_INS5_IJNSE_INSF_IiEEEENSE_INSF_IfEEEEEEEEEPS7_SU_SU_NSC_11hip_rocprim7__merge17predicate_wrapperIifNSC_4lessIiEEEEEE10hipError_tPvRmT0_T1_T2_T3_T4_T5_mmT6_P12ihipStream_tbEUlT_E0_NS1_11comp_targetILNS1_3genE4ELNS1_11target_archE910ELNS1_3gpuE8ELNS1_3repE0EEENS1_30default_config_static_selectorELNS0_4arch9wavefront6targetE0EEEvS15_
                                        ; -- End function
	.set _ZN7rocprim17ROCPRIM_400000_NS6detail17trampoline_kernelINS0_14default_configENS1_21merge_config_selectorINS0_5tupleIJifEEENS0_10empty_typeEEEZNS1_10merge_implIS3_NS0_12zip_iteratorINS5_IJN6thrust23THRUST_200600_302600_NS6detail15normal_iteratorINSC_10device_ptrIKiEEEENSE_INSF_IKfEEEEEEEEESN_NSA_INS5_IJNSE_INSF_IiEEEENSE_INSF_IfEEEEEEEEEPS7_SU_SU_NSC_11hip_rocprim7__merge17predicate_wrapperIifNSC_4lessIiEEEEEE10hipError_tPvRmT0_T1_T2_T3_T4_T5_mmT6_P12ihipStream_tbEUlT_E0_NS1_11comp_targetILNS1_3genE4ELNS1_11target_archE910ELNS1_3gpuE8ELNS1_3repE0EEENS1_30default_config_static_selectorELNS0_4arch9wavefront6targetE0EEEvS15_.num_vgpr, 0
	.set _ZN7rocprim17ROCPRIM_400000_NS6detail17trampoline_kernelINS0_14default_configENS1_21merge_config_selectorINS0_5tupleIJifEEENS0_10empty_typeEEEZNS1_10merge_implIS3_NS0_12zip_iteratorINS5_IJN6thrust23THRUST_200600_302600_NS6detail15normal_iteratorINSC_10device_ptrIKiEEEENSE_INSF_IKfEEEEEEEEESN_NSA_INS5_IJNSE_INSF_IiEEEENSE_INSF_IfEEEEEEEEEPS7_SU_SU_NSC_11hip_rocprim7__merge17predicate_wrapperIifNSC_4lessIiEEEEEE10hipError_tPvRmT0_T1_T2_T3_T4_T5_mmT6_P12ihipStream_tbEUlT_E0_NS1_11comp_targetILNS1_3genE4ELNS1_11target_archE910ELNS1_3gpuE8ELNS1_3repE0EEENS1_30default_config_static_selectorELNS0_4arch9wavefront6targetE0EEEvS15_.num_agpr, 0
	.set _ZN7rocprim17ROCPRIM_400000_NS6detail17trampoline_kernelINS0_14default_configENS1_21merge_config_selectorINS0_5tupleIJifEEENS0_10empty_typeEEEZNS1_10merge_implIS3_NS0_12zip_iteratorINS5_IJN6thrust23THRUST_200600_302600_NS6detail15normal_iteratorINSC_10device_ptrIKiEEEENSE_INSF_IKfEEEEEEEEESN_NSA_INS5_IJNSE_INSF_IiEEEENSE_INSF_IfEEEEEEEEEPS7_SU_SU_NSC_11hip_rocprim7__merge17predicate_wrapperIifNSC_4lessIiEEEEEE10hipError_tPvRmT0_T1_T2_T3_T4_T5_mmT6_P12ihipStream_tbEUlT_E0_NS1_11comp_targetILNS1_3genE4ELNS1_11target_archE910ELNS1_3gpuE8ELNS1_3repE0EEENS1_30default_config_static_selectorELNS0_4arch9wavefront6targetE0EEEvS15_.numbered_sgpr, 0
	.set _ZN7rocprim17ROCPRIM_400000_NS6detail17trampoline_kernelINS0_14default_configENS1_21merge_config_selectorINS0_5tupleIJifEEENS0_10empty_typeEEEZNS1_10merge_implIS3_NS0_12zip_iteratorINS5_IJN6thrust23THRUST_200600_302600_NS6detail15normal_iteratorINSC_10device_ptrIKiEEEENSE_INSF_IKfEEEEEEEEESN_NSA_INS5_IJNSE_INSF_IiEEEENSE_INSF_IfEEEEEEEEEPS7_SU_SU_NSC_11hip_rocprim7__merge17predicate_wrapperIifNSC_4lessIiEEEEEE10hipError_tPvRmT0_T1_T2_T3_T4_T5_mmT6_P12ihipStream_tbEUlT_E0_NS1_11comp_targetILNS1_3genE4ELNS1_11target_archE910ELNS1_3gpuE8ELNS1_3repE0EEENS1_30default_config_static_selectorELNS0_4arch9wavefront6targetE0EEEvS15_.num_named_barrier, 0
	.set _ZN7rocprim17ROCPRIM_400000_NS6detail17trampoline_kernelINS0_14default_configENS1_21merge_config_selectorINS0_5tupleIJifEEENS0_10empty_typeEEEZNS1_10merge_implIS3_NS0_12zip_iteratorINS5_IJN6thrust23THRUST_200600_302600_NS6detail15normal_iteratorINSC_10device_ptrIKiEEEENSE_INSF_IKfEEEEEEEEESN_NSA_INS5_IJNSE_INSF_IiEEEENSE_INSF_IfEEEEEEEEEPS7_SU_SU_NSC_11hip_rocprim7__merge17predicate_wrapperIifNSC_4lessIiEEEEEE10hipError_tPvRmT0_T1_T2_T3_T4_T5_mmT6_P12ihipStream_tbEUlT_E0_NS1_11comp_targetILNS1_3genE4ELNS1_11target_archE910ELNS1_3gpuE8ELNS1_3repE0EEENS1_30default_config_static_selectorELNS0_4arch9wavefront6targetE0EEEvS15_.private_seg_size, 0
	.set _ZN7rocprim17ROCPRIM_400000_NS6detail17trampoline_kernelINS0_14default_configENS1_21merge_config_selectorINS0_5tupleIJifEEENS0_10empty_typeEEEZNS1_10merge_implIS3_NS0_12zip_iteratorINS5_IJN6thrust23THRUST_200600_302600_NS6detail15normal_iteratorINSC_10device_ptrIKiEEEENSE_INSF_IKfEEEEEEEEESN_NSA_INS5_IJNSE_INSF_IiEEEENSE_INSF_IfEEEEEEEEEPS7_SU_SU_NSC_11hip_rocprim7__merge17predicate_wrapperIifNSC_4lessIiEEEEEE10hipError_tPvRmT0_T1_T2_T3_T4_T5_mmT6_P12ihipStream_tbEUlT_E0_NS1_11comp_targetILNS1_3genE4ELNS1_11target_archE910ELNS1_3gpuE8ELNS1_3repE0EEENS1_30default_config_static_selectorELNS0_4arch9wavefront6targetE0EEEvS15_.uses_vcc, 0
	.set _ZN7rocprim17ROCPRIM_400000_NS6detail17trampoline_kernelINS0_14default_configENS1_21merge_config_selectorINS0_5tupleIJifEEENS0_10empty_typeEEEZNS1_10merge_implIS3_NS0_12zip_iteratorINS5_IJN6thrust23THRUST_200600_302600_NS6detail15normal_iteratorINSC_10device_ptrIKiEEEENSE_INSF_IKfEEEEEEEEESN_NSA_INS5_IJNSE_INSF_IiEEEENSE_INSF_IfEEEEEEEEEPS7_SU_SU_NSC_11hip_rocprim7__merge17predicate_wrapperIifNSC_4lessIiEEEEEE10hipError_tPvRmT0_T1_T2_T3_T4_T5_mmT6_P12ihipStream_tbEUlT_E0_NS1_11comp_targetILNS1_3genE4ELNS1_11target_archE910ELNS1_3gpuE8ELNS1_3repE0EEENS1_30default_config_static_selectorELNS0_4arch9wavefront6targetE0EEEvS15_.uses_flat_scratch, 0
	.set _ZN7rocprim17ROCPRIM_400000_NS6detail17trampoline_kernelINS0_14default_configENS1_21merge_config_selectorINS0_5tupleIJifEEENS0_10empty_typeEEEZNS1_10merge_implIS3_NS0_12zip_iteratorINS5_IJN6thrust23THRUST_200600_302600_NS6detail15normal_iteratorINSC_10device_ptrIKiEEEENSE_INSF_IKfEEEEEEEEESN_NSA_INS5_IJNSE_INSF_IiEEEENSE_INSF_IfEEEEEEEEEPS7_SU_SU_NSC_11hip_rocprim7__merge17predicate_wrapperIifNSC_4lessIiEEEEEE10hipError_tPvRmT0_T1_T2_T3_T4_T5_mmT6_P12ihipStream_tbEUlT_E0_NS1_11comp_targetILNS1_3genE4ELNS1_11target_archE910ELNS1_3gpuE8ELNS1_3repE0EEENS1_30default_config_static_selectorELNS0_4arch9wavefront6targetE0EEEvS15_.has_dyn_sized_stack, 0
	.set _ZN7rocprim17ROCPRIM_400000_NS6detail17trampoline_kernelINS0_14default_configENS1_21merge_config_selectorINS0_5tupleIJifEEENS0_10empty_typeEEEZNS1_10merge_implIS3_NS0_12zip_iteratorINS5_IJN6thrust23THRUST_200600_302600_NS6detail15normal_iteratorINSC_10device_ptrIKiEEEENSE_INSF_IKfEEEEEEEEESN_NSA_INS5_IJNSE_INSF_IiEEEENSE_INSF_IfEEEEEEEEEPS7_SU_SU_NSC_11hip_rocprim7__merge17predicate_wrapperIifNSC_4lessIiEEEEEE10hipError_tPvRmT0_T1_T2_T3_T4_T5_mmT6_P12ihipStream_tbEUlT_E0_NS1_11comp_targetILNS1_3genE4ELNS1_11target_archE910ELNS1_3gpuE8ELNS1_3repE0EEENS1_30default_config_static_selectorELNS0_4arch9wavefront6targetE0EEEvS15_.has_recursion, 0
	.set _ZN7rocprim17ROCPRIM_400000_NS6detail17trampoline_kernelINS0_14default_configENS1_21merge_config_selectorINS0_5tupleIJifEEENS0_10empty_typeEEEZNS1_10merge_implIS3_NS0_12zip_iteratorINS5_IJN6thrust23THRUST_200600_302600_NS6detail15normal_iteratorINSC_10device_ptrIKiEEEENSE_INSF_IKfEEEEEEEEESN_NSA_INS5_IJNSE_INSF_IiEEEENSE_INSF_IfEEEEEEEEEPS7_SU_SU_NSC_11hip_rocprim7__merge17predicate_wrapperIifNSC_4lessIiEEEEEE10hipError_tPvRmT0_T1_T2_T3_T4_T5_mmT6_P12ihipStream_tbEUlT_E0_NS1_11comp_targetILNS1_3genE4ELNS1_11target_archE910ELNS1_3gpuE8ELNS1_3repE0EEENS1_30default_config_static_selectorELNS0_4arch9wavefront6targetE0EEEvS15_.has_indirect_call, 0
	.section	.AMDGPU.csdata,"",@progbits
; Kernel info:
; codeLenInByte = 0
; TotalNumSgprs: 0
; NumVgprs: 0
; ScratchSize: 0
; MemoryBound: 0
; FloatMode: 240
; IeeeMode: 1
; LDSByteSize: 0 bytes/workgroup (compile time only)
; SGPRBlocks: 0
; VGPRBlocks: 0
; NumSGPRsForWavesPerEU: 1
; NumVGPRsForWavesPerEU: 1
; Occupancy: 16
; WaveLimiterHint : 0
; COMPUTE_PGM_RSRC2:SCRATCH_EN: 0
; COMPUTE_PGM_RSRC2:USER_SGPR: 6
; COMPUTE_PGM_RSRC2:TRAP_HANDLER: 0
; COMPUTE_PGM_RSRC2:TGID_X_EN: 1
; COMPUTE_PGM_RSRC2:TGID_Y_EN: 0
; COMPUTE_PGM_RSRC2:TGID_Z_EN: 0
; COMPUTE_PGM_RSRC2:TIDIG_COMP_CNT: 0
	.section	.text._ZN7rocprim17ROCPRIM_400000_NS6detail17trampoline_kernelINS0_14default_configENS1_21merge_config_selectorINS0_5tupleIJifEEENS0_10empty_typeEEEZNS1_10merge_implIS3_NS0_12zip_iteratorINS5_IJN6thrust23THRUST_200600_302600_NS6detail15normal_iteratorINSC_10device_ptrIKiEEEENSE_INSF_IKfEEEEEEEEESN_NSA_INS5_IJNSE_INSF_IiEEEENSE_INSF_IfEEEEEEEEEPS7_SU_SU_NSC_11hip_rocprim7__merge17predicate_wrapperIifNSC_4lessIiEEEEEE10hipError_tPvRmT0_T1_T2_T3_T4_T5_mmT6_P12ihipStream_tbEUlT_E0_NS1_11comp_targetILNS1_3genE3ELNS1_11target_archE908ELNS1_3gpuE7ELNS1_3repE0EEENS1_30default_config_static_selectorELNS0_4arch9wavefront6targetE0EEEvS15_,"axG",@progbits,_ZN7rocprim17ROCPRIM_400000_NS6detail17trampoline_kernelINS0_14default_configENS1_21merge_config_selectorINS0_5tupleIJifEEENS0_10empty_typeEEEZNS1_10merge_implIS3_NS0_12zip_iteratorINS5_IJN6thrust23THRUST_200600_302600_NS6detail15normal_iteratorINSC_10device_ptrIKiEEEENSE_INSF_IKfEEEEEEEEESN_NSA_INS5_IJNSE_INSF_IiEEEENSE_INSF_IfEEEEEEEEEPS7_SU_SU_NSC_11hip_rocprim7__merge17predicate_wrapperIifNSC_4lessIiEEEEEE10hipError_tPvRmT0_T1_T2_T3_T4_T5_mmT6_P12ihipStream_tbEUlT_E0_NS1_11comp_targetILNS1_3genE3ELNS1_11target_archE908ELNS1_3gpuE7ELNS1_3repE0EEENS1_30default_config_static_selectorELNS0_4arch9wavefront6targetE0EEEvS15_,comdat
	.protected	_ZN7rocprim17ROCPRIM_400000_NS6detail17trampoline_kernelINS0_14default_configENS1_21merge_config_selectorINS0_5tupleIJifEEENS0_10empty_typeEEEZNS1_10merge_implIS3_NS0_12zip_iteratorINS5_IJN6thrust23THRUST_200600_302600_NS6detail15normal_iteratorINSC_10device_ptrIKiEEEENSE_INSF_IKfEEEEEEEEESN_NSA_INS5_IJNSE_INSF_IiEEEENSE_INSF_IfEEEEEEEEEPS7_SU_SU_NSC_11hip_rocprim7__merge17predicate_wrapperIifNSC_4lessIiEEEEEE10hipError_tPvRmT0_T1_T2_T3_T4_T5_mmT6_P12ihipStream_tbEUlT_E0_NS1_11comp_targetILNS1_3genE3ELNS1_11target_archE908ELNS1_3gpuE7ELNS1_3repE0EEENS1_30default_config_static_selectorELNS0_4arch9wavefront6targetE0EEEvS15_ ; -- Begin function _ZN7rocprim17ROCPRIM_400000_NS6detail17trampoline_kernelINS0_14default_configENS1_21merge_config_selectorINS0_5tupleIJifEEENS0_10empty_typeEEEZNS1_10merge_implIS3_NS0_12zip_iteratorINS5_IJN6thrust23THRUST_200600_302600_NS6detail15normal_iteratorINSC_10device_ptrIKiEEEENSE_INSF_IKfEEEEEEEEESN_NSA_INS5_IJNSE_INSF_IiEEEENSE_INSF_IfEEEEEEEEEPS7_SU_SU_NSC_11hip_rocprim7__merge17predicate_wrapperIifNSC_4lessIiEEEEEE10hipError_tPvRmT0_T1_T2_T3_T4_T5_mmT6_P12ihipStream_tbEUlT_E0_NS1_11comp_targetILNS1_3genE3ELNS1_11target_archE908ELNS1_3gpuE7ELNS1_3repE0EEENS1_30default_config_static_selectorELNS0_4arch9wavefront6targetE0EEEvS15_
	.globl	_ZN7rocprim17ROCPRIM_400000_NS6detail17trampoline_kernelINS0_14default_configENS1_21merge_config_selectorINS0_5tupleIJifEEENS0_10empty_typeEEEZNS1_10merge_implIS3_NS0_12zip_iteratorINS5_IJN6thrust23THRUST_200600_302600_NS6detail15normal_iteratorINSC_10device_ptrIKiEEEENSE_INSF_IKfEEEEEEEEESN_NSA_INS5_IJNSE_INSF_IiEEEENSE_INSF_IfEEEEEEEEEPS7_SU_SU_NSC_11hip_rocprim7__merge17predicate_wrapperIifNSC_4lessIiEEEEEE10hipError_tPvRmT0_T1_T2_T3_T4_T5_mmT6_P12ihipStream_tbEUlT_E0_NS1_11comp_targetILNS1_3genE3ELNS1_11target_archE908ELNS1_3gpuE7ELNS1_3repE0EEENS1_30default_config_static_selectorELNS0_4arch9wavefront6targetE0EEEvS15_
	.p2align	8
	.type	_ZN7rocprim17ROCPRIM_400000_NS6detail17trampoline_kernelINS0_14default_configENS1_21merge_config_selectorINS0_5tupleIJifEEENS0_10empty_typeEEEZNS1_10merge_implIS3_NS0_12zip_iteratorINS5_IJN6thrust23THRUST_200600_302600_NS6detail15normal_iteratorINSC_10device_ptrIKiEEEENSE_INSF_IKfEEEEEEEEESN_NSA_INS5_IJNSE_INSF_IiEEEENSE_INSF_IfEEEEEEEEEPS7_SU_SU_NSC_11hip_rocprim7__merge17predicate_wrapperIifNSC_4lessIiEEEEEE10hipError_tPvRmT0_T1_T2_T3_T4_T5_mmT6_P12ihipStream_tbEUlT_E0_NS1_11comp_targetILNS1_3genE3ELNS1_11target_archE908ELNS1_3gpuE7ELNS1_3repE0EEENS1_30default_config_static_selectorELNS0_4arch9wavefront6targetE0EEEvS15_,@function
_ZN7rocprim17ROCPRIM_400000_NS6detail17trampoline_kernelINS0_14default_configENS1_21merge_config_selectorINS0_5tupleIJifEEENS0_10empty_typeEEEZNS1_10merge_implIS3_NS0_12zip_iteratorINS5_IJN6thrust23THRUST_200600_302600_NS6detail15normal_iteratorINSC_10device_ptrIKiEEEENSE_INSF_IKfEEEEEEEEESN_NSA_INS5_IJNSE_INSF_IiEEEENSE_INSF_IfEEEEEEEEEPS7_SU_SU_NSC_11hip_rocprim7__merge17predicate_wrapperIifNSC_4lessIiEEEEEE10hipError_tPvRmT0_T1_T2_T3_T4_T5_mmT6_P12ihipStream_tbEUlT_E0_NS1_11comp_targetILNS1_3genE3ELNS1_11target_archE908ELNS1_3gpuE7ELNS1_3repE0EEENS1_30default_config_static_selectorELNS0_4arch9wavefront6targetE0EEEvS15_: ; @_ZN7rocprim17ROCPRIM_400000_NS6detail17trampoline_kernelINS0_14default_configENS1_21merge_config_selectorINS0_5tupleIJifEEENS0_10empty_typeEEEZNS1_10merge_implIS3_NS0_12zip_iteratorINS5_IJN6thrust23THRUST_200600_302600_NS6detail15normal_iteratorINSC_10device_ptrIKiEEEENSE_INSF_IKfEEEEEEEEESN_NSA_INS5_IJNSE_INSF_IiEEEENSE_INSF_IfEEEEEEEEEPS7_SU_SU_NSC_11hip_rocprim7__merge17predicate_wrapperIifNSC_4lessIiEEEEEE10hipError_tPvRmT0_T1_T2_T3_T4_T5_mmT6_P12ihipStream_tbEUlT_E0_NS1_11comp_targetILNS1_3genE3ELNS1_11target_archE908ELNS1_3gpuE7ELNS1_3repE0EEENS1_30default_config_static_selectorELNS0_4arch9wavefront6targetE0EEEvS15_
; %bb.0:
	.section	.rodata,"a",@progbits
	.p2align	6, 0x0
	.amdhsa_kernel _ZN7rocprim17ROCPRIM_400000_NS6detail17trampoline_kernelINS0_14default_configENS1_21merge_config_selectorINS0_5tupleIJifEEENS0_10empty_typeEEEZNS1_10merge_implIS3_NS0_12zip_iteratorINS5_IJN6thrust23THRUST_200600_302600_NS6detail15normal_iteratorINSC_10device_ptrIKiEEEENSE_INSF_IKfEEEEEEEEESN_NSA_INS5_IJNSE_INSF_IiEEEENSE_INSF_IfEEEEEEEEEPS7_SU_SU_NSC_11hip_rocprim7__merge17predicate_wrapperIifNSC_4lessIiEEEEEE10hipError_tPvRmT0_T1_T2_T3_T4_T5_mmT6_P12ihipStream_tbEUlT_E0_NS1_11comp_targetILNS1_3genE3ELNS1_11target_archE908ELNS1_3gpuE7ELNS1_3repE0EEENS1_30default_config_static_selectorELNS0_4arch9wavefront6targetE0EEEvS15_
		.amdhsa_group_segment_fixed_size 0
		.amdhsa_private_segment_fixed_size 0
		.amdhsa_kernarg_size 112
		.amdhsa_user_sgpr_count 6
		.amdhsa_user_sgpr_private_segment_buffer 1
		.amdhsa_user_sgpr_dispatch_ptr 0
		.amdhsa_user_sgpr_queue_ptr 0
		.amdhsa_user_sgpr_kernarg_segment_ptr 1
		.amdhsa_user_sgpr_dispatch_id 0
		.amdhsa_user_sgpr_flat_scratch_init 0
		.amdhsa_user_sgpr_private_segment_size 0
		.amdhsa_wavefront_size32 1
		.amdhsa_uses_dynamic_stack 0
		.amdhsa_system_sgpr_private_segment_wavefront_offset 0
		.amdhsa_system_sgpr_workgroup_id_x 1
		.amdhsa_system_sgpr_workgroup_id_y 0
		.amdhsa_system_sgpr_workgroup_id_z 0
		.amdhsa_system_sgpr_workgroup_info 0
		.amdhsa_system_vgpr_workitem_id 0
		.amdhsa_next_free_vgpr 1
		.amdhsa_next_free_sgpr 1
		.amdhsa_reserve_vcc 0
		.amdhsa_reserve_flat_scratch 0
		.amdhsa_float_round_mode_32 0
		.amdhsa_float_round_mode_16_64 0
		.amdhsa_float_denorm_mode_32 3
		.amdhsa_float_denorm_mode_16_64 3
		.amdhsa_dx10_clamp 1
		.amdhsa_ieee_mode 1
		.amdhsa_fp16_overflow 0
		.amdhsa_workgroup_processor_mode 1
		.amdhsa_memory_ordered 1
		.amdhsa_forward_progress 1
		.amdhsa_shared_vgpr_count 0
		.amdhsa_exception_fp_ieee_invalid_op 0
		.amdhsa_exception_fp_denorm_src 0
		.amdhsa_exception_fp_ieee_div_zero 0
		.amdhsa_exception_fp_ieee_overflow 0
		.amdhsa_exception_fp_ieee_underflow 0
		.amdhsa_exception_fp_ieee_inexact 0
		.amdhsa_exception_int_div_zero 0
	.end_amdhsa_kernel
	.section	.text._ZN7rocprim17ROCPRIM_400000_NS6detail17trampoline_kernelINS0_14default_configENS1_21merge_config_selectorINS0_5tupleIJifEEENS0_10empty_typeEEEZNS1_10merge_implIS3_NS0_12zip_iteratorINS5_IJN6thrust23THRUST_200600_302600_NS6detail15normal_iteratorINSC_10device_ptrIKiEEEENSE_INSF_IKfEEEEEEEEESN_NSA_INS5_IJNSE_INSF_IiEEEENSE_INSF_IfEEEEEEEEEPS7_SU_SU_NSC_11hip_rocprim7__merge17predicate_wrapperIifNSC_4lessIiEEEEEE10hipError_tPvRmT0_T1_T2_T3_T4_T5_mmT6_P12ihipStream_tbEUlT_E0_NS1_11comp_targetILNS1_3genE3ELNS1_11target_archE908ELNS1_3gpuE7ELNS1_3repE0EEENS1_30default_config_static_selectorELNS0_4arch9wavefront6targetE0EEEvS15_,"axG",@progbits,_ZN7rocprim17ROCPRIM_400000_NS6detail17trampoline_kernelINS0_14default_configENS1_21merge_config_selectorINS0_5tupleIJifEEENS0_10empty_typeEEEZNS1_10merge_implIS3_NS0_12zip_iteratorINS5_IJN6thrust23THRUST_200600_302600_NS6detail15normal_iteratorINSC_10device_ptrIKiEEEENSE_INSF_IKfEEEEEEEEESN_NSA_INS5_IJNSE_INSF_IiEEEENSE_INSF_IfEEEEEEEEEPS7_SU_SU_NSC_11hip_rocprim7__merge17predicate_wrapperIifNSC_4lessIiEEEEEE10hipError_tPvRmT0_T1_T2_T3_T4_T5_mmT6_P12ihipStream_tbEUlT_E0_NS1_11comp_targetILNS1_3genE3ELNS1_11target_archE908ELNS1_3gpuE7ELNS1_3repE0EEENS1_30default_config_static_selectorELNS0_4arch9wavefront6targetE0EEEvS15_,comdat
.Lfunc_end14:
	.size	_ZN7rocprim17ROCPRIM_400000_NS6detail17trampoline_kernelINS0_14default_configENS1_21merge_config_selectorINS0_5tupleIJifEEENS0_10empty_typeEEEZNS1_10merge_implIS3_NS0_12zip_iteratorINS5_IJN6thrust23THRUST_200600_302600_NS6detail15normal_iteratorINSC_10device_ptrIKiEEEENSE_INSF_IKfEEEEEEEEESN_NSA_INS5_IJNSE_INSF_IiEEEENSE_INSF_IfEEEEEEEEEPS7_SU_SU_NSC_11hip_rocprim7__merge17predicate_wrapperIifNSC_4lessIiEEEEEE10hipError_tPvRmT0_T1_T2_T3_T4_T5_mmT6_P12ihipStream_tbEUlT_E0_NS1_11comp_targetILNS1_3genE3ELNS1_11target_archE908ELNS1_3gpuE7ELNS1_3repE0EEENS1_30default_config_static_selectorELNS0_4arch9wavefront6targetE0EEEvS15_, .Lfunc_end14-_ZN7rocprim17ROCPRIM_400000_NS6detail17trampoline_kernelINS0_14default_configENS1_21merge_config_selectorINS0_5tupleIJifEEENS0_10empty_typeEEEZNS1_10merge_implIS3_NS0_12zip_iteratorINS5_IJN6thrust23THRUST_200600_302600_NS6detail15normal_iteratorINSC_10device_ptrIKiEEEENSE_INSF_IKfEEEEEEEEESN_NSA_INS5_IJNSE_INSF_IiEEEENSE_INSF_IfEEEEEEEEEPS7_SU_SU_NSC_11hip_rocprim7__merge17predicate_wrapperIifNSC_4lessIiEEEEEE10hipError_tPvRmT0_T1_T2_T3_T4_T5_mmT6_P12ihipStream_tbEUlT_E0_NS1_11comp_targetILNS1_3genE3ELNS1_11target_archE908ELNS1_3gpuE7ELNS1_3repE0EEENS1_30default_config_static_selectorELNS0_4arch9wavefront6targetE0EEEvS15_
                                        ; -- End function
	.set _ZN7rocprim17ROCPRIM_400000_NS6detail17trampoline_kernelINS0_14default_configENS1_21merge_config_selectorINS0_5tupleIJifEEENS0_10empty_typeEEEZNS1_10merge_implIS3_NS0_12zip_iteratorINS5_IJN6thrust23THRUST_200600_302600_NS6detail15normal_iteratorINSC_10device_ptrIKiEEEENSE_INSF_IKfEEEEEEEEESN_NSA_INS5_IJNSE_INSF_IiEEEENSE_INSF_IfEEEEEEEEEPS7_SU_SU_NSC_11hip_rocprim7__merge17predicate_wrapperIifNSC_4lessIiEEEEEE10hipError_tPvRmT0_T1_T2_T3_T4_T5_mmT6_P12ihipStream_tbEUlT_E0_NS1_11comp_targetILNS1_3genE3ELNS1_11target_archE908ELNS1_3gpuE7ELNS1_3repE0EEENS1_30default_config_static_selectorELNS0_4arch9wavefront6targetE0EEEvS15_.num_vgpr, 0
	.set _ZN7rocprim17ROCPRIM_400000_NS6detail17trampoline_kernelINS0_14default_configENS1_21merge_config_selectorINS0_5tupleIJifEEENS0_10empty_typeEEEZNS1_10merge_implIS3_NS0_12zip_iteratorINS5_IJN6thrust23THRUST_200600_302600_NS6detail15normal_iteratorINSC_10device_ptrIKiEEEENSE_INSF_IKfEEEEEEEEESN_NSA_INS5_IJNSE_INSF_IiEEEENSE_INSF_IfEEEEEEEEEPS7_SU_SU_NSC_11hip_rocprim7__merge17predicate_wrapperIifNSC_4lessIiEEEEEE10hipError_tPvRmT0_T1_T2_T3_T4_T5_mmT6_P12ihipStream_tbEUlT_E0_NS1_11comp_targetILNS1_3genE3ELNS1_11target_archE908ELNS1_3gpuE7ELNS1_3repE0EEENS1_30default_config_static_selectorELNS0_4arch9wavefront6targetE0EEEvS15_.num_agpr, 0
	.set _ZN7rocprim17ROCPRIM_400000_NS6detail17trampoline_kernelINS0_14default_configENS1_21merge_config_selectorINS0_5tupleIJifEEENS0_10empty_typeEEEZNS1_10merge_implIS3_NS0_12zip_iteratorINS5_IJN6thrust23THRUST_200600_302600_NS6detail15normal_iteratorINSC_10device_ptrIKiEEEENSE_INSF_IKfEEEEEEEEESN_NSA_INS5_IJNSE_INSF_IiEEEENSE_INSF_IfEEEEEEEEEPS7_SU_SU_NSC_11hip_rocprim7__merge17predicate_wrapperIifNSC_4lessIiEEEEEE10hipError_tPvRmT0_T1_T2_T3_T4_T5_mmT6_P12ihipStream_tbEUlT_E0_NS1_11comp_targetILNS1_3genE3ELNS1_11target_archE908ELNS1_3gpuE7ELNS1_3repE0EEENS1_30default_config_static_selectorELNS0_4arch9wavefront6targetE0EEEvS15_.numbered_sgpr, 0
	.set _ZN7rocprim17ROCPRIM_400000_NS6detail17trampoline_kernelINS0_14default_configENS1_21merge_config_selectorINS0_5tupleIJifEEENS0_10empty_typeEEEZNS1_10merge_implIS3_NS0_12zip_iteratorINS5_IJN6thrust23THRUST_200600_302600_NS6detail15normal_iteratorINSC_10device_ptrIKiEEEENSE_INSF_IKfEEEEEEEEESN_NSA_INS5_IJNSE_INSF_IiEEEENSE_INSF_IfEEEEEEEEEPS7_SU_SU_NSC_11hip_rocprim7__merge17predicate_wrapperIifNSC_4lessIiEEEEEE10hipError_tPvRmT0_T1_T2_T3_T4_T5_mmT6_P12ihipStream_tbEUlT_E0_NS1_11comp_targetILNS1_3genE3ELNS1_11target_archE908ELNS1_3gpuE7ELNS1_3repE0EEENS1_30default_config_static_selectorELNS0_4arch9wavefront6targetE0EEEvS15_.num_named_barrier, 0
	.set _ZN7rocprim17ROCPRIM_400000_NS6detail17trampoline_kernelINS0_14default_configENS1_21merge_config_selectorINS0_5tupleIJifEEENS0_10empty_typeEEEZNS1_10merge_implIS3_NS0_12zip_iteratorINS5_IJN6thrust23THRUST_200600_302600_NS6detail15normal_iteratorINSC_10device_ptrIKiEEEENSE_INSF_IKfEEEEEEEEESN_NSA_INS5_IJNSE_INSF_IiEEEENSE_INSF_IfEEEEEEEEEPS7_SU_SU_NSC_11hip_rocprim7__merge17predicate_wrapperIifNSC_4lessIiEEEEEE10hipError_tPvRmT0_T1_T2_T3_T4_T5_mmT6_P12ihipStream_tbEUlT_E0_NS1_11comp_targetILNS1_3genE3ELNS1_11target_archE908ELNS1_3gpuE7ELNS1_3repE0EEENS1_30default_config_static_selectorELNS0_4arch9wavefront6targetE0EEEvS15_.private_seg_size, 0
	.set _ZN7rocprim17ROCPRIM_400000_NS6detail17trampoline_kernelINS0_14default_configENS1_21merge_config_selectorINS0_5tupleIJifEEENS0_10empty_typeEEEZNS1_10merge_implIS3_NS0_12zip_iteratorINS5_IJN6thrust23THRUST_200600_302600_NS6detail15normal_iteratorINSC_10device_ptrIKiEEEENSE_INSF_IKfEEEEEEEEESN_NSA_INS5_IJNSE_INSF_IiEEEENSE_INSF_IfEEEEEEEEEPS7_SU_SU_NSC_11hip_rocprim7__merge17predicate_wrapperIifNSC_4lessIiEEEEEE10hipError_tPvRmT0_T1_T2_T3_T4_T5_mmT6_P12ihipStream_tbEUlT_E0_NS1_11comp_targetILNS1_3genE3ELNS1_11target_archE908ELNS1_3gpuE7ELNS1_3repE0EEENS1_30default_config_static_selectorELNS0_4arch9wavefront6targetE0EEEvS15_.uses_vcc, 0
	.set _ZN7rocprim17ROCPRIM_400000_NS6detail17trampoline_kernelINS0_14default_configENS1_21merge_config_selectorINS0_5tupleIJifEEENS0_10empty_typeEEEZNS1_10merge_implIS3_NS0_12zip_iteratorINS5_IJN6thrust23THRUST_200600_302600_NS6detail15normal_iteratorINSC_10device_ptrIKiEEEENSE_INSF_IKfEEEEEEEEESN_NSA_INS5_IJNSE_INSF_IiEEEENSE_INSF_IfEEEEEEEEEPS7_SU_SU_NSC_11hip_rocprim7__merge17predicate_wrapperIifNSC_4lessIiEEEEEE10hipError_tPvRmT0_T1_T2_T3_T4_T5_mmT6_P12ihipStream_tbEUlT_E0_NS1_11comp_targetILNS1_3genE3ELNS1_11target_archE908ELNS1_3gpuE7ELNS1_3repE0EEENS1_30default_config_static_selectorELNS0_4arch9wavefront6targetE0EEEvS15_.uses_flat_scratch, 0
	.set _ZN7rocprim17ROCPRIM_400000_NS6detail17trampoline_kernelINS0_14default_configENS1_21merge_config_selectorINS0_5tupleIJifEEENS0_10empty_typeEEEZNS1_10merge_implIS3_NS0_12zip_iteratorINS5_IJN6thrust23THRUST_200600_302600_NS6detail15normal_iteratorINSC_10device_ptrIKiEEEENSE_INSF_IKfEEEEEEEEESN_NSA_INS5_IJNSE_INSF_IiEEEENSE_INSF_IfEEEEEEEEEPS7_SU_SU_NSC_11hip_rocprim7__merge17predicate_wrapperIifNSC_4lessIiEEEEEE10hipError_tPvRmT0_T1_T2_T3_T4_T5_mmT6_P12ihipStream_tbEUlT_E0_NS1_11comp_targetILNS1_3genE3ELNS1_11target_archE908ELNS1_3gpuE7ELNS1_3repE0EEENS1_30default_config_static_selectorELNS0_4arch9wavefront6targetE0EEEvS15_.has_dyn_sized_stack, 0
	.set _ZN7rocprim17ROCPRIM_400000_NS6detail17trampoline_kernelINS0_14default_configENS1_21merge_config_selectorINS0_5tupleIJifEEENS0_10empty_typeEEEZNS1_10merge_implIS3_NS0_12zip_iteratorINS5_IJN6thrust23THRUST_200600_302600_NS6detail15normal_iteratorINSC_10device_ptrIKiEEEENSE_INSF_IKfEEEEEEEEESN_NSA_INS5_IJNSE_INSF_IiEEEENSE_INSF_IfEEEEEEEEEPS7_SU_SU_NSC_11hip_rocprim7__merge17predicate_wrapperIifNSC_4lessIiEEEEEE10hipError_tPvRmT0_T1_T2_T3_T4_T5_mmT6_P12ihipStream_tbEUlT_E0_NS1_11comp_targetILNS1_3genE3ELNS1_11target_archE908ELNS1_3gpuE7ELNS1_3repE0EEENS1_30default_config_static_selectorELNS0_4arch9wavefront6targetE0EEEvS15_.has_recursion, 0
	.set _ZN7rocprim17ROCPRIM_400000_NS6detail17trampoline_kernelINS0_14default_configENS1_21merge_config_selectorINS0_5tupleIJifEEENS0_10empty_typeEEEZNS1_10merge_implIS3_NS0_12zip_iteratorINS5_IJN6thrust23THRUST_200600_302600_NS6detail15normal_iteratorINSC_10device_ptrIKiEEEENSE_INSF_IKfEEEEEEEEESN_NSA_INS5_IJNSE_INSF_IiEEEENSE_INSF_IfEEEEEEEEEPS7_SU_SU_NSC_11hip_rocprim7__merge17predicate_wrapperIifNSC_4lessIiEEEEEE10hipError_tPvRmT0_T1_T2_T3_T4_T5_mmT6_P12ihipStream_tbEUlT_E0_NS1_11comp_targetILNS1_3genE3ELNS1_11target_archE908ELNS1_3gpuE7ELNS1_3repE0EEENS1_30default_config_static_selectorELNS0_4arch9wavefront6targetE0EEEvS15_.has_indirect_call, 0
	.section	.AMDGPU.csdata,"",@progbits
; Kernel info:
; codeLenInByte = 0
; TotalNumSgprs: 0
; NumVgprs: 0
; ScratchSize: 0
; MemoryBound: 0
; FloatMode: 240
; IeeeMode: 1
; LDSByteSize: 0 bytes/workgroup (compile time only)
; SGPRBlocks: 0
; VGPRBlocks: 0
; NumSGPRsForWavesPerEU: 1
; NumVGPRsForWavesPerEU: 1
; Occupancy: 16
; WaveLimiterHint : 0
; COMPUTE_PGM_RSRC2:SCRATCH_EN: 0
; COMPUTE_PGM_RSRC2:USER_SGPR: 6
; COMPUTE_PGM_RSRC2:TRAP_HANDLER: 0
; COMPUTE_PGM_RSRC2:TGID_X_EN: 1
; COMPUTE_PGM_RSRC2:TGID_Y_EN: 0
; COMPUTE_PGM_RSRC2:TGID_Z_EN: 0
; COMPUTE_PGM_RSRC2:TIDIG_COMP_CNT: 0
	.section	.text._ZN7rocprim17ROCPRIM_400000_NS6detail17trampoline_kernelINS0_14default_configENS1_21merge_config_selectorINS0_5tupleIJifEEENS0_10empty_typeEEEZNS1_10merge_implIS3_NS0_12zip_iteratorINS5_IJN6thrust23THRUST_200600_302600_NS6detail15normal_iteratorINSC_10device_ptrIKiEEEENSE_INSF_IKfEEEEEEEEESN_NSA_INS5_IJNSE_INSF_IiEEEENSE_INSF_IfEEEEEEEEEPS7_SU_SU_NSC_11hip_rocprim7__merge17predicate_wrapperIifNSC_4lessIiEEEEEE10hipError_tPvRmT0_T1_T2_T3_T4_T5_mmT6_P12ihipStream_tbEUlT_E0_NS1_11comp_targetILNS1_3genE2ELNS1_11target_archE906ELNS1_3gpuE6ELNS1_3repE0EEENS1_30default_config_static_selectorELNS0_4arch9wavefront6targetE0EEEvS15_,"axG",@progbits,_ZN7rocprim17ROCPRIM_400000_NS6detail17trampoline_kernelINS0_14default_configENS1_21merge_config_selectorINS0_5tupleIJifEEENS0_10empty_typeEEEZNS1_10merge_implIS3_NS0_12zip_iteratorINS5_IJN6thrust23THRUST_200600_302600_NS6detail15normal_iteratorINSC_10device_ptrIKiEEEENSE_INSF_IKfEEEEEEEEESN_NSA_INS5_IJNSE_INSF_IiEEEENSE_INSF_IfEEEEEEEEEPS7_SU_SU_NSC_11hip_rocprim7__merge17predicate_wrapperIifNSC_4lessIiEEEEEE10hipError_tPvRmT0_T1_T2_T3_T4_T5_mmT6_P12ihipStream_tbEUlT_E0_NS1_11comp_targetILNS1_3genE2ELNS1_11target_archE906ELNS1_3gpuE6ELNS1_3repE0EEENS1_30default_config_static_selectorELNS0_4arch9wavefront6targetE0EEEvS15_,comdat
	.protected	_ZN7rocprim17ROCPRIM_400000_NS6detail17trampoline_kernelINS0_14default_configENS1_21merge_config_selectorINS0_5tupleIJifEEENS0_10empty_typeEEEZNS1_10merge_implIS3_NS0_12zip_iteratorINS5_IJN6thrust23THRUST_200600_302600_NS6detail15normal_iteratorINSC_10device_ptrIKiEEEENSE_INSF_IKfEEEEEEEEESN_NSA_INS5_IJNSE_INSF_IiEEEENSE_INSF_IfEEEEEEEEEPS7_SU_SU_NSC_11hip_rocprim7__merge17predicate_wrapperIifNSC_4lessIiEEEEEE10hipError_tPvRmT0_T1_T2_T3_T4_T5_mmT6_P12ihipStream_tbEUlT_E0_NS1_11comp_targetILNS1_3genE2ELNS1_11target_archE906ELNS1_3gpuE6ELNS1_3repE0EEENS1_30default_config_static_selectorELNS0_4arch9wavefront6targetE0EEEvS15_ ; -- Begin function _ZN7rocprim17ROCPRIM_400000_NS6detail17trampoline_kernelINS0_14default_configENS1_21merge_config_selectorINS0_5tupleIJifEEENS0_10empty_typeEEEZNS1_10merge_implIS3_NS0_12zip_iteratorINS5_IJN6thrust23THRUST_200600_302600_NS6detail15normal_iteratorINSC_10device_ptrIKiEEEENSE_INSF_IKfEEEEEEEEESN_NSA_INS5_IJNSE_INSF_IiEEEENSE_INSF_IfEEEEEEEEEPS7_SU_SU_NSC_11hip_rocprim7__merge17predicate_wrapperIifNSC_4lessIiEEEEEE10hipError_tPvRmT0_T1_T2_T3_T4_T5_mmT6_P12ihipStream_tbEUlT_E0_NS1_11comp_targetILNS1_3genE2ELNS1_11target_archE906ELNS1_3gpuE6ELNS1_3repE0EEENS1_30default_config_static_selectorELNS0_4arch9wavefront6targetE0EEEvS15_
	.globl	_ZN7rocprim17ROCPRIM_400000_NS6detail17trampoline_kernelINS0_14default_configENS1_21merge_config_selectorINS0_5tupleIJifEEENS0_10empty_typeEEEZNS1_10merge_implIS3_NS0_12zip_iteratorINS5_IJN6thrust23THRUST_200600_302600_NS6detail15normal_iteratorINSC_10device_ptrIKiEEEENSE_INSF_IKfEEEEEEEEESN_NSA_INS5_IJNSE_INSF_IiEEEENSE_INSF_IfEEEEEEEEEPS7_SU_SU_NSC_11hip_rocprim7__merge17predicate_wrapperIifNSC_4lessIiEEEEEE10hipError_tPvRmT0_T1_T2_T3_T4_T5_mmT6_P12ihipStream_tbEUlT_E0_NS1_11comp_targetILNS1_3genE2ELNS1_11target_archE906ELNS1_3gpuE6ELNS1_3repE0EEENS1_30default_config_static_selectorELNS0_4arch9wavefront6targetE0EEEvS15_
	.p2align	8
	.type	_ZN7rocprim17ROCPRIM_400000_NS6detail17trampoline_kernelINS0_14default_configENS1_21merge_config_selectorINS0_5tupleIJifEEENS0_10empty_typeEEEZNS1_10merge_implIS3_NS0_12zip_iteratorINS5_IJN6thrust23THRUST_200600_302600_NS6detail15normal_iteratorINSC_10device_ptrIKiEEEENSE_INSF_IKfEEEEEEEEESN_NSA_INS5_IJNSE_INSF_IiEEEENSE_INSF_IfEEEEEEEEEPS7_SU_SU_NSC_11hip_rocprim7__merge17predicate_wrapperIifNSC_4lessIiEEEEEE10hipError_tPvRmT0_T1_T2_T3_T4_T5_mmT6_P12ihipStream_tbEUlT_E0_NS1_11comp_targetILNS1_3genE2ELNS1_11target_archE906ELNS1_3gpuE6ELNS1_3repE0EEENS1_30default_config_static_selectorELNS0_4arch9wavefront6targetE0EEEvS15_,@function
_ZN7rocprim17ROCPRIM_400000_NS6detail17trampoline_kernelINS0_14default_configENS1_21merge_config_selectorINS0_5tupleIJifEEENS0_10empty_typeEEEZNS1_10merge_implIS3_NS0_12zip_iteratorINS5_IJN6thrust23THRUST_200600_302600_NS6detail15normal_iteratorINSC_10device_ptrIKiEEEENSE_INSF_IKfEEEEEEEEESN_NSA_INS5_IJNSE_INSF_IiEEEENSE_INSF_IfEEEEEEEEEPS7_SU_SU_NSC_11hip_rocprim7__merge17predicate_wrapperIifNSC_4lessIiEEEEEE10hipError_tPvRmT0_T1_T2_T3_T4_T5_mmT6_P12ihipStream_tbEUlT_E0_NS1_11comp_targetILNS1_3genE2ELNS1_11target_archE906ELNS1_3gpuE6ELNS1_3repE0EEENS1_30default_config_static_selectorELNS0_4arch9wavefront6targetE0EEEvS15_: ; @_ZN7rocprim17ROCPRIM_400000_NS6detail17trampoline_kernelINS0_14default_configENS1_21merge_config_selectorINS0_5tupleIJifEEENS0_10empty_typeEEEZNS1_10merge_implIS3_NS0_12zip_iteratorINS5_IJN6thrust23THRUST_200600_302600_NS6detail15normal_iteratorINSC_10device_ptrIKiEEEENSE_INSF_IKfEEEEEEEEESN_NSA_INS5_IJNSE_INSF_IiEEEENSE_INSF_IfEEEEEEEEEPS7_SU_SU_NSC_11hip_rocprim7__merge17predicate_wrapperIifNSC_4lessIiEEEEEE10hipError_tPvRmT0_T1_T2_T3_T4_T5_mmT6_P12ihipStream_tbEUlT_E0_NS1_11comp_targetILNS1_3genE2ELNS1_11target_archE906ELNS1_3gpuE6ELNS1_3repE0EEENS1_30default_config_static_selectorELNS0_4arch9wavefront6targetE0EEEvS15_
; %bb.0:
	.section	.rodata,"a",@progbits
	.p2align	6, 0x0
	.amdhsa_kernel _ZN7rocprim17ROCPRIM_400000_NS6detail17trampoline_kernelINS0_14default_configENS1_21merge_config_selectorINS0_5tupleIJifEEENS0_10empty_typeEEEZNS1_10merge_implIS3_NS0_12zip_iteratorINS5_IJN6thrust23THRUST_200600_302600_NS6detail15normal_iteratorINSC_10device_ptrIKiEEEENSE_INSF_IKfEEEEEEEEESN_NSA_INS5_IJNSE_INSF_IiEEEENSE_INSF_IfEEEEEEEEEPS7_SU_SU_NSC_11hip_rocprim7__merge17predicate_wrapperIifNSC_4lessIiEEEEEE10hipError_tPvRmT0_T1_T2_T3_T4_T5_mmT6_P12ihipStream_tbEUlT_E0_NS1_11comp_targetILNS1_3genE2ELNS1_11target_archE906ELNS1_3gpuE6ELNS1_3repE0EEENS1_30default_config_static_selectorELNS0_4arch9wavefront6targetE0EEEvS15_
		.amdhsa_group_segment_fixed_size 0
		.amdhsa_private_segment_fixed_size 0
		.amdhsa_kernarg_size 112
		.amdhsa_user_sgpr_count 6
		.amdhsa_user_sgpr_private_segment_buffer 1
		.amdhsa_user_sgpr_dispatch_ptr 0
		.amdhsa_user_sgpr_queue_ptr 0
		.amdhsa_user_sgpr_kernarg_segment_ptr 1
		.amdhsa_user_sgpr_dispatch_id 0
		.amdhsa_user_sgpr_flat_scratch_init 0
		.amdhsa_user_sgpr_private_segment_size 0
		.amdhsa_wavefront_size32 1
		.amdhsa_uses_dynamic_stack 0
		.amdhsa_system_sgpr_private_segment_wavefront_offset 0
		.amdhsa_system_sgpr_workgroup_id_x 1
		.amdhsa_system_sgpr_workgroup_id_y 0
		.amdhsa_system_sgpr_workgroup_id_z 0
		.amdhsa_system_sgpr_workgroup_info 0
		.amdhsa_system_vgpr_workitem_id 0
		.amdhsa_next_free_vgpr 1
		.amdhsa_next_free_sgpr 1
		.amdhsa_reserve_vcc 0
		.amdhsa_reserve_flat_scratch 0
		.amdhsa_float_round_mode_32 0
		.amdhsa_float_round_mode_16_64 0
		.amdhsa_float_denorm_mode_32 3
		.amdhsa_float_denorm_mode_16_64 3
		.amdhsa_dx10_clamp 1
		.amdhsa_ieee_mode 1
		.amdhsa_fp16_overflow 0
		.amdhsa_workgroup_processor_mode 1
		.amdhsa_memory_ordered 1
		.amdhsa_forward_progress 1
		.amdhsa_shared_vgpr_count 0
		.amdhsa_exception_fp_ieee_invalid_op 0
		.amdhsa_exception_fp_denorm_src 0
		.amdhsa_exception_fp_ieee_div_zero 0
		.amdhsa_exception_fp_ieee_overflow 0
		.amdhsa_exception_fp_ieee_underflow 0
		.amdhsa_exception_fp_ieee_inexact 0
		.amdhsa_exception_int_div_zero 0
	.end_amdhsa_kernel
	.section	.text._ZN7rocprim17ROCPRIM_400000_NS6detail17trampoline_kernelINS0_14default_configENS1_21merge_config_selectorINS0_5tupleIJifEEENS0_10empty_typeEEEZNS1_10merge_implIS3_NS0_12zip_iteratorINS5_IJN6thrust23THRUST_200600_302600_NS6detail15normal_iteratorINSC_10device_ptrIKiEEEENSE_INSF_IKfEEEEEEEEESN_NSA_INS5_IJNSE_INSF_IiEEEENSE_INSF_IfEEEEEEEEEPS7_SU_SU_NSC_11hip_rocprim7__merge17predicate_wrapperIifNSC_4lessIiEEEEEE10hipError_tPvRmT0_T1_T2_T3_T4_T5_mmT6_P12ihipStream_tbEUlT_E0_NS1_11comp_targetILNS1_3genE2ELNS1_11target_archE906ELNS1_3gpuE6ELNS1_3repE0EEENS1_30default_config_static_selectorELNS0_4arch9wavefront6targetE0EEEvS15_,"axG",@progbits,_ZN7rocprim17ROCPRIM_400000_NS6detail17trampoline_kernelINS0_14default_configENS1_21merge_config_selectorINS0_5tupleIJifEEENS0_10empty_typeEEEZNS1_10merge_implIS3_NS0_12zip_iteratorINS5_IJN6thrust23THRUST_200600_302600_NS6detail15normal_iteratorINSC_10device_ptrIKiEEEENSE_INSF_IKfEEEEEEEEESN_NSA_INS5_IJNSE_INSF_IiEEEENSE_INSF_IfEEEEEEEEEPS7_SU_SU_NSC_11hip_rocprim7__merge17predicate_wrapperIifNSC_4lessIiEEEEEE10hipError_tPvRmT0_T1_T2_T3_T4_T5_mmT6_P12ihipStream_tbEUlT_E0_NS1_11comp_targetILNS1_3genE2ELNS1_11target_archE906ELNS1_3gpuE6ELNS1_3repE0EEENS1_30default_config_static_selectorELNS0_4arch9wavefront6targetE0EEEvS15_,comdat
.Lfunc_end15:
	.size	_ZN7rocprim17ROCPRIM_400000_NS6detail17trampoline_kernelINS0_14default_configENS1_21merge_config_selectorINS0_5tupleIJifEEENS0_10empty_typeEEEZNS1_10merge_implIS3_NS0_12zip_iteratorINS5_IJN6thrust23THRUST_200600_302600_NS6detail15normal_iteratorINSC_10device_ptrIKiEEEENSE_INSF_IKfEEEEEEEEESN_NSA_INS5_IJNSE_INSF_IiEEEENSE_INSF_IfEEEEEEEEEPS7_SU_SU_NSC_11hip_rocprim7__merge17predicate_wrapperIifNSC_4lessIiEEEEEE10hipError_tPvRmT0_T1_T2_T3_T4_T5_mmT6_P12ihipStream_tbEUlT_E0_NS1_11comp_targetILNS1_3genE2ELNS1_11target_archE906ELNS1_3gpuE6ELNS1_3repE0EEENS1_30default_config_static_selectorELNS0_4arch9wavefront6targetE0EEEvS15_, .Lfunc_end15-_ZN7rocprim17ROCPRIM_400000_NS6detail17trampoline_kernelINS0_14default_configENS1_21merge_config_selectorINS0_5tupleIJifEEENS0_10empty_typeEEEZNS1_10merge_implIS3_NS0_12zip_iteratorINS5_IJN6thrust23THRUST_200600_302600_NS6detail15normal_iteratorINSC_10device_ptrIKiEEEENSE_INSF_IKfEEEEEEEEESN_NSA_INS5_IJNSE_INSF_IiEEEENSE_INSF_IfEEEEEEEEEPS7_SU_SU_NSC_11hip_rocprim7__merge17predicate_wrapperIifNSC_4lessIiEEEEEE10hipError_tPvRmT0_T1_T2_T3_T4_T5_mmT6_P12ihipStream_tbEUlT_E0_NS1_11comp_targetILNS1_3genE2ELNS1_11target_archE906ELNS1_3gpuE6ELNS1_3repE0EEENS1_30default_config_static_selectorELNS0_4arch9wavefront6targetE0EEEvS15_
                                        ; -- End function
	.set _ZN7rocprim17ROCPRIM_400000_NS6detail17trampoline_kernelINS0_14default_configENS1_21merge_config_selectorINS0_5tupleIJifEEENS0_10empty_typeEEEZNS1_10merge_implIS3_NS0_12zip_iteratorINS5_IJN6thrust23THRUST_200600_302600_NS6detail15normal_iteratorINSC_10device_ptrIKiEEEENSE_INSF_IKfEEEEEEEEESN_NSA_INS5_IJNSE_INSF_IiEEEENSE_INSF_IfEEEEEEEEEPS7_SU_SU_NSC_11hip_rocprim7__merge17predicate_wrapperIifNSC_4lessIiEEEEEE10hipError_tPvRmT0_T1_T2_T3_T4_T5_mmT6_P12ihipStream_tbEUlT_E0_NS1_11comp_targetILNS1_3genE2ELNS1_11target_archE906ELNS1_3gpuE6ELNS1_3repE0EEENS1_30default_config_static_selectorELNS0_4arch9wavefront6targetE0EEEvS15_.num_vgpr, 0
	.set _ZN7rocprim17ROCPRIM_400000_NS6detail17trampoline_kernelINS0_14default_configENS1_21merge_config_selectorINS0_5tupleIJifEEENS0_10empty_typeEEEZNS1_10merge_implIS3_NS0_12zip_iteratorINS5_IJN6thrust23THRUST_200600_302600_NS6detail15normal_iteratorINSC_10device_ptrIKiEEEENSE_INSF_IKfEEEEEEEEESN_NSA_INS5_IJNSE_INSF_IiEEEENSE_INSF_IfEEEEEEEEEPS7_SU_SU_NSC_11hip_rocprim7__merge17predicate_wrapperIifNSC_4lessIiEEEEEE10hipError_tPvRmT0_T1_T2_T3_T4_T5_mmT6_P12ihipStream_tbEUlT_E0_NS1_11comp_targetILNS1_3genE2ELNS1_11target_archE906ELNS1_3gpuE6ELNS1_3repE0EEENS1_30default_config_static_selectorELNS0_4arch9wavefront6targetE0EEEvS15_.num_agpr, 0
	.set _ZN7rocprim17ROCPRIM_400000_NS6detail17trampoline_kernelINS0_14default_configENS1_21merge_config_selectorINS0_5tupleIJifEEENS0_10empty_typeEEEZNS1_10merge_implIS3_NS0_12zip_iteratorINS5_IJN6thrust23THRUST_200600_302600_NS6detail15normal_iteratorINSC_10device_ptrIKiEEEENSE_INSF_IKfEEEEEEEEESN_NSA_INS5_IJNSE_INSF_IiEEEENSE_INSF_IfEEEEEEEEEPS7_SU_SU_NSC_11hip_rocprim7__merge17predicate_wrapperIifNSC_4lessIiEEEEEE10hipError_tPvRmT0_T1_T2_T3_T4_T5_mmT6_P12ihipStream_tbEUlT_E0_NS1_11comp_targetILNS1_3genE2ELNS1_11target_archE906ELNS1_3gpuE6ELNS1_3repE0EEENS1_30default_config_static_selectorELNS0_4arch9wavefront6targetE0EEEvS15_.numbered_sgpr, 0
	.set _ZN7rocprim17ROCPRIM_400000_NS6detail17trampoline_kernelINS0_14default_configENS1_21merge_config_selectorINS0_5tupleIJifEEENS0_10empty_typeEEEZNS1_10merge_implIS3_NS0_12zip_iteratorINS5_IJN6thrust23THRUST_200600_302600_NS6detail15normal_iteratorINSC_10device_ptrIKiEEEENSE_INSF_IKfEEEEEEEEESN_NSA_INS5_IJNSE_INSF_IiEEEENSE_INSF_IfEEEEEEEEEPS7_SU_SU_NSC_11hip_rocprim7__merge17predicate_wrapperIifNSC_4lessIiEEEEEE10hipError_tPvRmT0_T1_T2_T3_T4_T5_mmT6_P12ihipStream_tbEUlT_E0_NS1_11comp_targetILNS1_3genE2ELNS1_11target_archE906ELNS1_3gpuE6ELNS1_3repE0EEENS1_30default_config_static_selectorELNS0_4arch9wavefront6targetE0EEEvS15_.num_named_barrier, 0
	.set _ZN7rocprim17ROCPRIM_400000_NS6detail17trampoline_kernelINS0_14default_configENS1_21merge_config_selectorINS0_5tupleIJifEEENS0_10empty_typeEEEZNS1_10merge_implIS3_NS0_12zip_iteratorINS5_IJN6thrust23THRUST_200600_302600_NS6detail15normal_iteratorINSC_10device_ptrIKiEEEENSE_INSF_IKfEEEEEEEEESN_NSA_INS5_IJNSE_INSF_IiEEEENSE_INSF_IfEEEEEEEEEPS7_SU_SU_NSC_11hip_rocprim7__merge17predicate_wrapperIifNSC_4lessIiEEEEEE10hipError_tPvRmT0_T1_T2_T3_T4_T5_mmT6_P12ihipStream_tbEUlT_E0_NS1_11comp_targetILNS1_3genE2ELNS1_11target_archE906ELNS1_3gpuE6ELNS1_3repE0EEENS1_30default_config_static_selectorELNS0_4arch9wavefront6targetE0EEEvS15_.private_seg_size, 0
	.set _ZN7rocprim17ROCPRIM_400000_NS6detail17trampoline_kernelINS0_14default_configENS1_21merge_config_selectorINS0_5tupleIJifEEENS0_10empty_typeEEEZNS1_10merge_implIS3_NS0_12zip_iteratorINS5_IJN6thrust23THRUST_200600_302600_NS6detail15normal_iteratorINSC_10device_ptrIKiEEEENSE_INSF_IKfEEEEEEEEESN_NSA_INS5_IJNSE_INSF_IiEEEENSE_INSF_IfEEEEEEEEEPS7_SU_SU_NSC_11hip_rocprim7__merge17predicate_wrapperIifNSC_4lessIiEEEEEE10hipError_tPvRmT0_T1_T2_T3_T4_T5_mmT6_P12ihipStream_tbEUlT_E0_NS1_11comp_targetILNS1_3genE2ELNS1_11target_archE906ELNS1_3gpuE6ELNS1_3repE0EEENS1_30default_config_static_selectorELNS0_4arch9wavefront6targetE0EEEvS15_.uses_vcc, 0
	.set _ZN7rocprim17ROCPRIM_400000_NS6detail17trampoline_kernelINS0_14default_configENS1_21merge_config_selectorINS0_5tupleIJifEEENS0_10empty_typeEEEZNS1_10merge_implIS3_NS0_12zip_iteratorINS5_IJN6thrust23THRUST_200600_302600_NS6detail15normal_iteratorINSC_10device_ptrIKiEEEENSE_INSF_IKfEEEEEEEEESN_NSA_INS5_IJNSE_INSF_IiEEEENSE_INSF_IfEEEEEEEEEPS7_SU_SU_NSC_11hip_rocprim7__merge17predicate_wrapperIifNSC_4lessIiEEEEEE10hipError_tPvRmT0_T1_T2_T3_T4_T5_mmT6_P12ihipStream_tbEUlT_E0_NS1_11comp_targetILNS1_3genE2ELNS1_11target_archE906ELNS1_3gpuE6ELNS1_3repE0EEENS1_30default_config_static_selectorELNS0_4arch9wavefront6targetE0EEEvS15_.uses_flat_scratch, 0
	.set _ZN7rocprim17ROCPRIM_400000_NS6detail17trampoline_kernelINS0_14default_configENS1_21merge_config_selectorINS0_5tupleIJifEEENS0_10empty_typeEEEZNS1_10merge_implIS3_NS0_12zip_iteratorINS5_IJN6thrust23THRUST_200600_302600_NS6detail15normal_iteratorINSC_10device_ptrIKiEEEENSE_INSF_IKfEEEEEEEEESN_NSA_INS5_IJNSE_INSF_IiEEEENSE_INSF_IfEEEEEEEEEPS7_SU_SU_NSC_11hip_rocprim7__merge17predicate_wrapperIifNSC_4lessIiEEEEEE10hipError_tPvRmT0_T1_T2_T3_T4_T5_mmT6_P12ihipStream_tbEUlT_E0_NS1_11comp_targetILNS1_3genE2ELNS1_11target_archE906ELNS1_3gpuE6ELNS1_3repE0EEENS1_30default_config_static_selectorELNS0_4arch9wavefront6targetE0EEEvS15_.has_dyn_sized_stack, 0
	.set _ZN7rocprim17ROCPRIM_400000_NS6detail17trampoline_kernelINS0_14default_configENS1_21merge_config_selectorINS0_5tupleIJifEEENS0_10empty_typeEEEZNS1_10merge_implIS3_NS0_12zip_iteratorINS5_IJN6thrust23THRUST_200600_302600_NS6detail15normal_iteratorINSC_10device_ptrIKiEEEENSE_INSF_IKfEEEEEEEEESN_NSA_INS5_IJNSE_INSF_IiEEEENSE_INSF_IfEEEEEEEEEPS7_SU_SU_NSC_11hip_rocprim7__merge17predicate_wrapperIifNSC_4lessIiEEEEEE10hipError_tPvRmT0_T1_T2_T3_T4_T5_mmT6_P12ihipStream_tbEUlT_E0_NS1_11comp_targetILNS1_3genE2ELNS1_11target_archE906ELNS1_3gpuE6ELNS1_3repE0EEENS1_30default_config_static_selectorELNS0_4arch9wavefront6targetE0EEEvS15_.has_recursion, 0
	.set _ZN7rocprim17ROCPRIM_400000_NS6detail17trampoline_kernelINS0_14default_configENS1_21merge_config_selectorINS0_5tupleIJifEEENS0_10empty_typeEEEZNS1_10merge_implIS3_NS0_12zip_iteratorINS5_IJN6thrust23THRUST_200600_302600_NS6detail15normal_iteratorINSC_10device_ptrIKiEEEENSE_INSF_IKfEEEEEEEEESN_NSA_INS5_IJNSE_INSF_IiEEEENSE_INSF_IfEEEEEEEEEPS7_SU_SU_NSC_11hip_rocprim7__merge17predicate_wrapperIifNSC_4lessIiEEEEEE10hipError_tPvRmT0_T1_T2_T3_T4_T5_mmT6_P12ihipStream_tbEUlT_E0_NS1_11comp_targetILNS1_3genE2ELNS1_11target_archE906ELNS1_3gpuE6ELNS1_3repE0EEENS1_30default_config_static_selectorELNS0_4arch9wavefront6targetE0EEEvS15_.has_indirect_call, 0
	.section	.AMDGPU.csdata,"",@progbits
; Kernel info:
; codeLenInByte = 0
; TotalNumSgprs: 0
; NumVgprs: 0
; ScratchSize: 0
; MemoryBound: 0
; FloatMode: 240
; IeeeMode: 1
; LDSByteSize: 0 bytes/workgroup (compile time only)
; SGPRBlocks: 0
; VGPRBlocks: 0
; NumSGPRsForWavesPerEU: 1
; NumVGPRsForWavesPerEU: 1
; Occupancy: 16
; WaveLimiterHint : 0
; COMPUTE_PGM_RSRC2:SCRATCH_EN: 0
; COMPUTE_PGM_RSRC2:USER_SGPR: 6
; COMPUTE_PGM_RSRC2:TRAP_HANDLER: 0
; COMPUTE_PGM_RSRC2:TGID_X_EN: 1
; COMPUTE_PGM_RSRC2:TGID_Y_EN: 0
; COMPUTE_PGM_RSRC2:TGID_Z_EN: 0
; COMPUTE_PGM_RSRC2:TIDIG_COMP_CNT: 0
	.section	.text._ZN7rocprim17ROCPRIM_400000_NS6detail17trampoline_kernelINS0_14default_configENS1_21merge_config_selectorINS0_5tupleIJifEEENS0_10empty_typeEEEZNS1_10merge_implIS3_NS0_12zip_iteratorINS5_IJN6thrust23THRUST_200600_302600_NS6detail15normal_iteratorINSC_10device_ptrIKiEEEENSE_INSF_IKfEEEEEEEEESN_NSA_INS5_IJNSE_INSF_IiEEEENSE_INSF_IfEEEEEEEEEPS7_SU_SU_NSC_11hip_rocprim7__merge17predicate_wrapperIifNSC_4lessIiEEEEEE10hipError_tPvRmT0_T1_T2_T3_T4_T5_mmT6_P12ihipStream_tbEUlT_E0_NS1_11comp_targetILNS1_3genE10ELNS1_11target_archE1201ELNS1_3gpuE5ELNS1_3repE0EEENS1_30default_config_static_selectorELNS0_4arch9wavefront6targetE0EEEvS15_,"axG",@progbits,_ZN7rocprim17ROCPRIM_400000_NS6detail17trampoline_kernelINS0_14default_configENS1_21merge_config_selectorINS0_5tupleIJifEEENS0_10empty_typeEEEZNS1_10merge_implIS3_NS0_12zip_iteratorINS5_IJN6thrust23THRUST_200600_302600_NS6detail15normal_iteratorINSC_10device_ptrIKiEEEENSE_INSF_IKfEEEEEEEEESN_NSA_INS5_IJNSE_INSF_IiEEEENSE_INSF_IfEEEEEEEEEPS7_SU_SU_NSC_11hip_rocprim7__merge17predicate_wrapperIifNSC_4lessIiEEEEEE10hipError_tPvRmT0_T1_T2_T3_T4_T5_mmT6_P12ihipStream_tbEUlT_E0_NS1_11comp_targetILNS1_3genE10ELNS1_11target_archE1201ELNS1_3gpuE5ELNS1_3repE0EEENS1_30default_config_static_selectorELNS0_4arch9wavefront6targetE0EEEvS15_,comdat
	.protected	_ZN7rocprim17ROCPRIM_400000_NS6detail17trampoline_kernelINS0_14default_configENS1_21merge_config_selectorINS0_5tupleIJifEEENS0_10empty_typeEEEZNS1_10merge_implIS3_NS0_12zip_iteratorINS5_IJN6thrust23THRUST_200600_302600_NS6detail15normal_iteratorINSC_10device_ptrIKiEEEENSE_INSF_IKfEEEEEEEEESN_NSA_INS5_IJNSE_INSF_IiEEEENSE_INSF_IfEEEEEEEEEPS7_SU_SU_NSC_11hip_rocprim7__merge17predicate_wrapperIifNSC_4lessIiEEEEEE10hipError_tPvRmT0_T1_T2_T3_T4_T5_mmT6_P12ihipStream_tbEUlT_E0_NS1_11comp_targetILNS1_3genE10ELNS1_11target_archE1201ELNS1_3gpuE5ELNS1_3repE0EEENS1_30default_config_static_selectorELNS0_4arch9wavefront6targetE0EEEvS15_ ; -- Begin function _ZN7rocprim17ROCPRIM_400000_NS6detail17trampoline_kernelINS0_14default_configENS1_21merge_config_selectorINS0_5tupleIJifEEENS0_10empty_typeEEEZNS1_10merge_implIS3_NS0_12zip_iteratorINS5_IJN6thrust23THRUST_200600_302600_NS6detail15normal_iteratorINSC_10device_ptrIKiEEEENSE_INSF_IKfEEEEEEEEESN_NSA_INS5_IJNSE_INSF_IiEEEENSE_INSF_IfEEEEEEEEEPS7_SU_SU_NSC_11hip_rocprim7__merge17predicate_wrapperIifNSC_4lessIiEEEEEE10hipError_tPvRmT0_T1_T2_T3_T4_T5_mmT6_P12ihipStream_tbEUlT_E0_NS1_11comp_targetILNS1_3genE10ELNS1_11target_archE1201ELNS1_3gpuE5ELNS1_3repE0EEENS1_30default_config_static_selectorELNS0_4arch9wavefront6targetE0EEEvS15_
	.globl	_ZN7rocprim17ROCPRIM_400000_NS6detail17trampoline_kernelINS0_14default_configENS1_21merge_config_selectorINS0_5tupleIJifEEENS0_10empty_typeEEEZNS1_10merge_implIS3_NS0_12zip_iteratorINS5_IJN6thrust23THRUST_200600_302600_NS6detail15normal_iteratorINSC_10device_ptrIKiEEEENSE_INSF_IKfEEEEEEEEESN_NSA_INS5_IJNSE_INSF_IiEEEENSE_INSF_IfEEEEEEEEEPS7_SU_SU_NSC_11hip_rocprim7__merge17predicate_wrapperIifNSC_4lessIiEEEEEE10hipError_tPvRmT0_T1_T2_T3_T4_T5_mmT6_P12ihipStream_tbEUlT_E0_NS1_11comp_targetILNS1_3genE10ELNS1_11target_archE1201ELNS1_3gpuE5ELNS1_3repE0EEENS1_30default_config_static_selectorELNS0_4arch9wavefront6targetE0EEEvS15_
	.p2align	8
	.type	_ZN7rocprim17ROCPRIM_400000_NS6detail17trampoline_kernelINS0_14default_configENS1_21merge_config_selectorINS0_5tupleIJifEEENS0_10empty_typeEEEZNS1_10merge_implIS3_NS0_12zip_iteratorINS5_IJN6thrust23THRUST_200600_302600_NS6detail15normal_iteratorINSC_10device_ptrIKiEEEENSE_INSF_IKfEEEEEEEEESN_NSA_INS5_IJNSE_INSF_IiEEEENSE_INSF_IfEEEEEEEEEPS7_SU_SU_NSC_11hip_rocprim7__merge17predicate_wrapperIifNSC_4lessIiEEEEEE10hipError_tPvRmT0_T1_T2_T3_T4_T5_mmT6_P12ihipStream_tbEUlT_E0_NS1_11comp_targetILNS1_3genE10ELNS1_11target_archE1201ELNS1_3gpuE5ELNS1_3repE0EEENS1_30default_config_static_selectorELNS0_4arch9wavefront6targetE0EEEvS15_,@function
_ZN7rocprim17ROCPRIM_400000_NS6detail17trampoline_kernelINS0_14default_configENS1_21merge_config_selectorINS0_5tupleIJifEEENS0_10empty_typeEEEZNS1_10merge_implIS3_NS0_12zip_iteratorINS5_IJN6thrust23THRUST_200600_302600_NS6detail15normal_iteratorINSC_10device_ptrIKiEEEENSE_INSF_IKfEEEEEEEEESN_NSA_INS5_IJNSE_INSF_IiEEEENSE_INSF_IfEEEEEEEEEPS7_SU_SU_NSC_11hip_rocprim7__merge17predicate_wrapperIifNSC_4lessIiEEEEEE10hipError_tPvRmT0_T1_T2_T3_T4_T5_mmT6_P12ihipStream_tbEUlT_E0_NS1_11comp_targetILNS1_3genE10ELNS1_11target_archE1201ELNS1_3gpuE5ELNS1_3repE0EEENS1_30default_config_static_selectorELNS0_4arch9wavefront6targetE0EEEvS15_: ; @_ZN7rocprim17ROCPRIM_400000_NS6detail17trampoline_kernelINS0_14default_configENS1_21merge_config_selectorINS0_5tupleIJifEEENS0_10empty_typeEEEZNS1_10merge_implIS3_NS0_12zip_iteratorINS5_IJN6thrust23THRUST_200600_302600_NS6detail15normal_iteratorINSC_10device_ptrIKiEEEENSE_INSF_IKfEEEEEEEEESN_NSA_INS5_IJNSE_INSF_IiEEEENSE_INSF_IfEEEEEEEEEPS7_SU_SU_NSC_11hip_rocprim7__merge17predicate_wrapperIifNSC_4lessIiEEEEEE10hipError_tPvRmT0_T1_T2_T3_T4_T5_mmT6_P12ihipStream_tbEUlT_E0_NS1_11comp_targetILNS1_3genE10ELNS1_11target_archE1201ELNS1_3gpuE5ELNS1_3repE0EEENS1_30default_config_static_selectorELNS0_4arch9wavefront6targetE0EEEvS15_
; %bb.0:
	.section	.rodata,"a",@progbits
	.p2align	6, 0x0
	.amdhsa_kernel _ZN7rocprim17ROCPRIM_400000_NS6detail17trampoline_kernelINS0_14default_configENS1_21merge_config_selectorINS0_5tupleIJifEEENS0_10empty_typeEEEZNS1_10merge_implIS3_NS0_12zip_iteratorINS5_IJN6thrust23THRUST_200600_302600_NS6detail15normal_iteratorINSC_10device_ptrIKiEEEENSE_INSF_IKfEEEEEEEEESN_NSA_INS5_IJNSE_INSF_IiEEEENSE_INSF_IfEEEEEEEEEPS7_SU_SU_NSC_11hip_rocprim7__merge17predicate_wrapperIifNSC_4lessIiEEEEEE10hipError_tPvRmT0_T1_T2_T3_T4_T5_mmT6_P12ihipStream_tbEUlT_E0_NS1_11comp_targetILNS1_3genE10ELNS1_11target_archE1201ELNS1_3gpuE5ELNS1_3repE0EEENS1_30default_config_static_selectorELNS0_4arch9wavefront6targetE0EEEvS15_
		.amdhsa_group_segment_fixed_size 0
		.amdhsa_private_segment_fixed_size 0
		.amdhsa_kernarg_size 112
		.amdhsa_user_sgpr_count 6
		.amdhsa_user_sgpr_private_segment_buffer 1
		.amdhsa_user_sgpr_dispatch_ptr 0
		.amdhsa_user_sgpr_queue_ptr 0
		.amdhsa_user_sgpr_kernarg_segment_ptr 1
		.amdhsa_user_sgpr_dispatch_id 0
		.amdhsa_user_sgpr_flat_scratch_init 0
		.amdhsa_user_sgpr_private_segment_size 0
		.amdhsa_wavefront_size32 1
		.amdhsa_uses_dynamic_stack 0
		.amdhsa_system_sgpr_private_segment_wavefront_offset 0
		.amdhsa_system_sgpr_workgroup_id_x 1
		.amdhsa_system_sgpr_workgroup_id_y 0
		.amdhsa_system_sgpr_workgroup_id_z 0
		.amdhsa_system_sgpr_workgroup_info 0
		.amdhsa_system_vgpr_workitem_id 0
		.amdhsa_next_free_vgpr 1
		.amdhsa_next_free_sgpr 1
		.amdhsa_reserve_vcc 0
		.amdhsa_reserve_flat_scratch 0
		.amdhsa_float_round_mode_32 0
		.amdhsa_float_round_mode_16_64 0
		.amdhsa_float_denorm_mode_32 3
		.amdhsa_float_denorm_mode_16_64 3
		.amdhsa_dx10_clamp 1
		.amdhsa_ieee_mode 1
		.amdhsa_fp16_overflow 0
		.amdhsa_workgroup_processor_mode 1
		.amdhsa_memory_ordered 1
		.amdhsa_forward_progress 1
		.amdhsa_shared_vgpr_count 0
		.amdhsa_exception_fp_ieee_invalid_op 0
		.amdhsa_exception_fp_denorm_src 0
		.amdhsa_exception_fp_ieee_div_zero 0
		.amdhsa_exception_fp_ieee_overflow 0
		.amdhsa_exception_fp_ieee_underflow 0
		.amdhsa_exception_fp_ieee_inexact 0
		.amdhsa_exception_int_div_zero 0
	.end_amdhsa_kernel
	.section	.text._ZN7rocprim17ROCPRIM_400000_NS6detail17trampoline_kernelINS0_14default_configENS1_21merge_config_selectorINS0_5tupleIJifEEENS0_10empty_typeEEEZNS1_10merge_implIS3_NS0_12zip_iteratorINS5_IJN6thrust23THRUST_200600_302600_NS6detail15normal_iteratorINSC_10device_ptrIKiEEEENSE_INSF_IKfEEEEEEEEESN_NSA_INS5_IJNSE_INSF_IiEEEENSE_INSF_IfEEEEEEEEEPS7_SU_SU_NSC_11hip_rocprim7__merge17predicate_wrapperIifNSC_4lessIiEEEEEE10hipError_tPvRmT0_T1_T2_T3_T4_T5_mmT6_P12ihipStream_tbEUlT_E0_NS1_11comp_targetILNS1_3genE10ELNS1_11target_archE1201ELNS1_3gpuE5ELNS1_3repE0EEENS1_30default_config_static_selectorELNS0_4arch9wavefront6targetE0EEEvS15_,"axG",@progbits,_ZN7rocprim17ROCPRIM_400000_NS6detail17trampoline_kernelINS0_14default_configENS1_21merge_config_selectorINS0_5tupleIJifEEENS0_10empty_typeEEEZNS1_10merge_implIS3_NS0_12zip_iteratorINS5_IJN6thrust23THRUST_200600_302600_NS6detail15normal_iteratorINSC_10device_ptrIKiEEEENSE_INSF_IKfEEEEEEEEESN_NSA_INS5_IJNSE_INSF_IiEEEENSE_INSF_IfEEEEEEEEEPS7_SU_SU_NSC_11hip_rocprim7__merge17predicate_wrapperIifNSC_4lessIiEEEEEE10hipError_tPvRmT0_T1_T2_T3_T4_T5_mmT6_P12ihipStream_tbEUlT_E0_NS1_11comp_targetILNS1_3genE10ELNS1_11target_archE1201ELNS1_3gpuE5ELNS1_3repE0EEENS1_30default_config_static_selectorELNS0_4arch9wavefront6targetE0EEEvS15_,comdat
.Lfunc_end16:
	.size	_ZN7rocprim17ROCPRIM_400000_NS6detail17trampoline_kernelINS0_14default_configENS1_21merge_config_selectorINS0_5tupleIJifEEENS0_10empty_typeEEEZNS1_10merge_implIS3_NS0_12zip_iteratorINS5_IJN6thrust23THRUST_200600_302600_NS6detail15normal_iteratorINSC_10device_ptrIKiEEEENSE_INSF_IKfEEEEEEEEESN_NSA_INS5_IJNSE_INSF_IiEEEENSE_INSF_IfEEEEEEEEEPS7_SU_SU_NSC_11hip_rocprim7__merge17predicate_wrapperIifNSC_4lessIiEEEEEE10hipError_tPvRmT0_T1_T2_T3_T4_T5_mmT6_P12ihipStream_tbEUlT_E0_NS1_11comp_targetILNS1_3genE10ELNS1_11target_archE1201ELNS1_3gpuE5ELNS1_3repE0EEENS1_30default_config_static_selectorELNS0_4arch9wavefront6targetE0EEEvS15_, .Lfunc_end16-_ZN7rocprim17ROCPRIM_400000_NS6detail17trampoline_kernelINS0_14default_configENS1_21merge_config_selectorINS0_5tupleIJifEEENS0_10empty_typeEEEZNS1_10merge_implIS3_NS0_12zip_iteratorINS5_IJN6thrust23THRUST_200600_302600_NS6detail15normal_iteratorINSC_10device_ptrIKiEEEENSE_INSF_IKfEEEEEEEEESN_NSA_INS5_IJNSE_INSF_IiEEEENSE_INSF_IfEEEEEEEEEPS7_SU_SU_NSC_11hip_rocprim7__merge17predicate_wrapperIifNSC_4lessIiEEEEEE10hipError_tPvRmT0_T1_T2_T3_T4_T5_mmT6_P12ihipStream_tbEUlT_E0_NS1_11comp_targetILNS1_3genE10ELNS1_11target_archE1201ELNS1_3gpuE5ELNS1_3repE0EEENS1_30default_config_static_selectorELNS0_4arch9wavefront6targetE0EEEvS15_
                                        ; -- End function
	.set _ZN7rocprim17ROCPRIM_400000_NS6detail17trampoline_kernelINS0_14default_configENS1_21merge_config_selectorINS0_5tupleIJifEEENS0_10empty_typeEEEZNS1_10merge_implIS3_NS0_12zip_iteratorINS5_IJN6thrust23THRUST_200600_302600_NS6detail15normal_iteratorINSC_10device_ptrIKiEEEENSE_INSF_IKfEEEEEEEEESN_NSA_INS5_IJNSE_INSF_IiEEEENSE_INSF_IfEEEEEEEEEPS7_SU_SU_NSC_11hip_rocprim7__merge17predicate_wrapperIifNSC_4lessIiEEEEEE10hipError_tPvRmT0_T1_T2_T3_T4_T5_mmT6_P12ihipStream_tbEUlT_E0_NS1_11comp_targetILNS1_3genE10ELNS1_11target_archE1201ELNS1_3gpuE5ELNS1_3repE0EEENS1_30default_config_static_selectorELNS0_4arch9wavefront6targetE0EEEvS15_.num_vgpr, 0
	.set _ZN7rocprim17ROCPRIM_400000_NS6detail17trampoline_kernelINS0_14default_configENS1_21merge_config_selectorINS0_5tupleIJifEEENS0_10empty_typeEEEZNS1_10merge_implIS3_NS0_12zip_iteratorINS5_IJN6thrust23THRUST_200600_302600_NS6detail15normal_iteratorINSC_10device_ptrIKiEEEENSE_INSF_IKfEEEEEEEEESN_NSA_INS5_IJNSE_INSF_IiEEEENSE_INSF_IfEEEEEEEEEPS7_SU_SU_NSC_11hip_rocprim7__merge17predicate_wrapperIifNSC_4lessIiEEEEEE10hipError_tPvRmT0_T1_T2_T3_T4_T5_mmT6_P12ihipStream_tbEUlT_E0_NS1_11comp_targetILNS1_3genE10ELNS1_11target_archE1201ELNS1_3gpuE5ELNS1_3repE0EEENS1_30default_config_static_selectorELNS0_4arch9wavefront6targetE0EEEvS15_.num_agpr, 0
	.set _ZN7rocprim17ROCPRIM_400000_NS6detail17trampoline_kernelINS0_14default_configENS1_21merge_config_selectorINS0_5tupleIJifEEENS0_10empty_typeEEEZNS1_10merge_implIS3_NS0_12zip_iteratorINS5_IJN6thrust23THRUST_200600_302600_NS6detail15normal_iteratorINSC_10device_ptrIKiEEEENSE_INSF_IKfEEEEEEEEESN_NSA_INS5_IJNSE_INSF_IiEEEENSE_INSF_IfEEEEEEEEEPS7_SU_SU_NSC_11hip_rocprim7__merge17predicate_wrapperIifNSC_4lessIiEEEEEE10hipError_tPvRmT0_T1_T2_T3_T4_T5_mmT6_P12ihipStream_tbEUlT_E0_NS1_11comp_targetILNS1_3genE10ELNS1_11target_archE1201ELNS1_3gpuE5ELNS1_3repE0EEENS1_30default_config_static_selectorELNS0_4arch9wavefront6targetE0EEEvS15_.numbered_sgpr, 0
	.set _ZN7rocprim17ROCPRIM_400000_NS6detail17trampoline_kernelINS0_14default_configENS1_21merge_config_selectorINS0_5tupleIJifEEENS0_10empty_typeEEEZNS1_10merge_implIS3_NS0_12zip_iteratorINS5_IJN6thrust23THRUST_200600_302600_NS6detail15normal_iteratorINSC_10device_ptrIKiEEEENSE_INSF_IKfEEEEEEEEESN_NSA_INS5_IJNSE_INSF_IiEEEENSE_INSF_IfEEEEEEEEEPS7_SU_SU_NSC_11hip_rocprim7__merge17predicate_wrapperIifNSC_4lessIiEEEEEE10hipError_tPvRmT0_T1_T2_T3_T4_T5_mmT6_P12ihipStream_tbEUlT_E0_NS1_11comp_targetILNS1_3genE10ELNS1_11target_archE1201ELNS1_3gpuE5ELNS1_3repE0EEENS1_30default_config_static_selectorELNS0_4arch9wavefront6targetE0EEEvS15_.num_named_barrier, 0
	.set _ZN7rocprim17ROCPRIM_400000_NS6detail17trampoline_kernelINS0_14default_configENS1_21merge_config_selectorINS0_5tupleIJifEEENS0_10empty_typeEEEZNS1_10merge_implIS3_NS0_12zip_iteratorINS5_IJN6thrust23THRUST_200600_302600_NS6detail15normal_iteratorINSC_10device_ptrIKiEEEENSE_INSF_IKfEEEEEEEEESN_NSA_INS5_IJNSE_INSF_IiEEEENSE_INSF_IfEEEEEEEEEPS7_SU_SU_NSC_11hip_rocprim7__merge17predicate_wrapperIifNSC_4lessIiEEEEEE10hipError_tPvRmT0_T1_T2_T3_T4_T5_mmT6_P12ihipStream_tbEUlT_E0_NS1_11comp_targetILNS1_3genE10ELNS1_11target_archE1201ELNS1_3gpuE5ELNS1_3repE0EEENS1_30default_config_static_selectorELNS0_4arch9wavefront6targetE0EEEvS15_.private_seg_size, 0
	.set _ZN7rocprim17ROCPRIM_400000_NS6detail17trampoline_kernelINS0_14default_configENS1_21merge_config_selectorINS0_5tupleIJifEEENS0_10empty_typeEEEZNS1_10merge_implIS3_NS0_12zip_iteratorINS5_IJN6thrust23THRUST_200600_302600_NS6detail15normal_iteratorINSC_10device_ptrIKiEEEENSE_INSF_IKfEEEEEEEEESN_NSA_INS5_IJNSE_INSF_IiEEEENSE_INSF_IfEEEEEEEEEPS7_SU_SU_NSC_11hip_rocprim7__merge17predicate_wrapperIifNSC_4lessIiEEEEEE10hipError_tPvRmT0_T1_T2_T3_T4_T5_mmT6_P12ihipStream_tbEUlT_E0_NS1_11comp_targetILNS1_3genE10ELNS1_11target_archE1201ELNS1_3gpuE5ELNS1_3repE0EEENS1_30default_config_static_selectorELNS0_4arch9wavefront6targetE0EEEvS15_.uses_vcc, 0
	.set _ZN7rocprim17ROCPRIM_400000_NS6detail17trampoline_kernelINS0_14default_configENS1_21merge_config_selectorINS0_5tupleIJifEEENS0_10empty_typeEEEZNS1_10merge_implIS3_NS0_12zip_iteratorINS5_IJN6thrust23THRUST_200600_302600_NS6detail15normal_iteratorINSC_10device_ptrIKiEEEENSE_INSF_IKfEEEEEEEEESN_NSA_INS5_IJNSE_INSF_IiEEEENSE_INSF_IfEEEEEEEEEPS7_SU_SU_NSC_11hip_rocprim7__merge17predicate_wrapperIifNSC_4lessIiEEEEEE10hipError_tPvRmT0_T1_T2_T3_T4_T5_mmT6_P12ihipStream_tbEUlT_E0_NS1_11comp_targetILNS1_3genE10ELNS1_11target_archE1201ELNS1_3gpuE5ELNS1_3repE0EEENS1_30default_config_static_selectorELNS0_4arch9wavefront6targetE0EEEvS15_.uses_flat_scratch, 0
	.set _ZN7rocprim17ROCPRIM_400000_NS6detail17trampoline_kernelINS0_14default_configENS1_21merge_config_selectorINS0_5tupleIJifEEENS0_10empty_typeEEEZNS1_10merge_implIS3_NS0_12zip_iteratorINS5_IJN6thrust23THRUST_200600_302600_NS6detail15normal_iteratorINSC_10device_ptrIKiEEEENSE_INSF_IKfEEEEEEEEESN_NSA_INS5_IJNSE_INSF_IiEEEENSE_INSF_IfEEEEEEEEEPS7_SU_SU_NSC_11hip_rocprim7__merge17predicate_wrapperIifNSC_4lessIiEEEEEE10hipError_tPvRmT0_T1_T2_T3_T4_T5_mmT6_P12ihipStream_tbEUlT_E0_NS1_11comp_targetILNS1_3genE10ELNS1_11target_archE1201ELNS1_3gpuE5ELNS1_3repE0EEENS1_30default_config_static_selectorELNS0_4arch9wavefront6targetE0EEEvS15_.has_dyn_sized_stack, 0
	.set _ZN7rocprim17ROCPRIM_400000_NS6detail17trampoline_kernelINS0_14default_configENS1_21merge_config_selectorINS0_5tupleIJifEEENS0_10empty_typeEEEZNS1_10merge_implIS3_NS0_12zip_iteratorINS5_IJN6thrust23THRUST_200600_302600_NS6detail15normal_iteratorINSC_10device_ptrIKiEEEENSE_INSF_IKfEEEEEEEEESN_NSA_INS5_IJNSE_INSF_IiEEEENSE_INSF_IfEEEEEEEEEPS7_SU_SU_NSC_11hip_rocprim7__merge17predicate_wrapperIifNSC_4lessIiEEEEEE10hipError_tPvRmT0_T1_T2_T3_T4_T5_mmT6_P12ihipStream_tbEUlT_E0_NS1_11comp_targetILNS1_3genE10ELNS1_11target_archE1201ELNS1_3gpuE5ELNS1_3repE0EEENS1_30default_config_static_selectorELNS0_4arch9wavefront6targetE0EEEvS15_.has_recursion, 0
	.set _ZN7rocprim17ROCPRIM_400000_NS6detail17trampoline_kernelINS0_14default_configENS1_21merge_config_selectorINS0_5tupleIJifEEENS0_10empty_typeEEEZNS1_10merge_implIS3_NS0_12zip_iteratorINS5_IJN6thrust23THRUST_200600_302600_NS6detail15normal_iteratorINSC_10device_ptrIKiEEEENSE_INSF_IKfEEEEEEEEESN_NSA_INS5_IJNSE_INSF_IiEEEENSE_INSF_IfEEEEEEEEEPS7_SU_SU_NSC_11hip_rocprim7__merge17predicate_wrapperIifNSC_4lessIiEEEEEE10hipError_tPvRmT0_T1_T2_T3_T4_T5_mmT6_P12ihipStream_tbEUlT_E0_NS1_11comp_targetILNS1_3genE10ELNS1_11target_archE1201ELNS1_3gpuE5ELNS1_3repE0EEENS1_30default_config_static_selectorELNS0_4arch9wavefront6targetE0EEEvS15_.has_indirect_call, 0
	.section	.AMDGPU.csdata,"",@progbits
; Kernel info:
; codeLenInByte = 0
; TotalNumSgprs: 0
; NumVgprs: 0
; ScratchSize: 0
; MemoryBound: 0
; FloatMode: 240
; IeeeMode: 1
; LDSByteSize: 0 bytes/workgroup (compile time only)
; SGPRBlocks: 0
; VGPRBlocks: 0
; NumSGPRsForWavesPerEU: 1
; NumVGPRsForWavesPerEU: 1
; Occupancy: 16
; WaveLimiterHint : 0
; COMPUTE_PGM_RSRC2:SCRATCH_EN: 0
; COMPUTE_PGM_RSRC2:USER_SGPR: 6
; COMPUTE_PGM_RSRC2:TRAP_HANDLER: 0
; COMPUTE_PGM_RSRC2:TGID_X_EN: 1
; COMPUTE_PGM_RSRC2:TGID_Y_EN: 0
; COMPUTE_PGM_RSRC2:TGID_Z_EN: 0
; COMPUTE_PGM_RSRC2:TIDIG_COMP_CNT: 0
	.section	.text._ZN7rocprim17ROCPRIM_400000_NS6detail17trampoline_kernelINS0_14default_configENS1_21merge_config_selectorINS0_5tupleIJifEEENS0_10empty_typeEEEZNS1_10merge_implIS3_NS0_12zip_iteratorINS5_IJN6thrust23THRUST_200600_302600_NS6detail15normal_iteratorINSC_10device_ptrIKiEEEENSE_INSF_IKfEEEEEEEEESN_NSA_INS5_IJNSE_INSF_IiEEEENSE_INSF_IfEEEEEEEEEPS7_SU_SU_NSC_11hip_rocprim7__merge17predicate_wrapperIifNSC_4lessIiEEEEEE10hipError_tPvRmT0_T1_T2_T3_T4_T5_mmT6_P12ihipStream_tbEUlT_E0_NS1_11comp_targetILNS1_3genE10ELNS1_11target_archE1200ELNS1_3gpuE4ELNS1_3repE0EEENS1_30default_config_static_selectorELNS0_4arch9wavefront6targetE0EEEvS15_,"axG",@progbits,_ZN7rocprim17ROCPRIM_400000_NS6detail17trampoline_kernelINS0_14default_configENS1_21merge_config_selectorINS0_5tupleIJifEEENS0_10empty_typeEEEZNS1_10merge_implIS3_NS0_12zip_iteratorINS5_IJN6thrust23THRUST_200600_302600_NS6detail15normal_iteratorINSC_10device_ptrIKiEEEENSE_INSF_IKfEEEEEEEEESN_NSA_INS5_IJNSE_INSF_IiEEEENSE_INSF_IfEEEEEEEEEPS7_SU_SU_NSC_11hip_rocprim7__merge17predicate_wrapperIifNSC_4lessIiEEEEEE10hipError_tPvRmT0_T1_T2_T3_T4_T5_mmT6_P12ihipStream_tbEUlT_E0_NS1_11comp_targetILNS1_3genE10ELNS1_11target_archE1200ELNS1_3gpuE4ELNS1_3repE0EEENS1_30default_config_static_selectorELNS0_4arch9wavefront6targetE0EEEvS15_,comdat
	.protected	_ZN7rocprim17ROCPRIM_400000_NS6detail17trampoline_kernelINS0_14default_configENS1_21merge_config_selectorINS0_5tupleIJifEEENS0_10empty_typeEEEZNS1_10merge_implIS3_NS0_12zip_iteratorINS5_IJN6thrust23THRUST_200600_302600_NS6detail15normal_iteratorINSC_10device_ptrIKiEEEENSE_INSF_IKfEEEEEEEEESN_NSA_INS5_IJNSE_INSF_IiEEEENSE_INSF_IfEEEEEEEEEPS7_SU_SU_NSC_11hip_rocprim7__merge17predicate_wrapperIifNSC_4lessIiEEEEEE10hipError_tPvRmT0_T1_T2_T3_T4_T5_mmT6_P12ihipStream_tbEUlT_E0_NS1_11comp_targetILNS1_3genE10ELNS1_11target_archE1200ELNS1_3gpuE4ELNS1_3repE0EEENS1_30default_config_static_selectorELNS0_4arch9wavefront6targetE0EEEvS15_ ; -- Begin function _ZN7rocprim17ROCPRIM_400000_NS6detail17trampoline_kernelINS0_14default_configENS1_21merge_config_selectorINS0_5tupleIJifEEENS0_10empty_typeEEEZNS1_10merge_implIS3_NS0_12zip_iteratorINS5_IJN6thrust23THRUST_200600_302600_NS6detail15normal_iteratorINSC_10device_ptrIKiEEEENSE_INSF_IKfEEEEEEEEESN_NSA_INS5_IJNSE_INSF_IiEEEENSE_INSF_IfEEEEEEEEEPS7_SU_SU_NSC_11hip_rocprim7__merge17predicate_wrapperIifNSC_4lessIiEEEEEE10hipError_tPvRmT0_T1_T2_T3_T4_T5_mmT6_P12ihipStream_tbEUlT_E0_NS1_11comp_targetILNS1_3genE10ELNS1_11target_archE1200ELNS1_3gpuE4ELNS1_3repE0EEENS1_30default_config_static_selectorELNS0_4arch9wavefront6targetE0EEEvS15_
	.globl	_ZN7rocprim17ROCPRIM_400000_NS6detail17trampoline_kernelINS0_14default_configENS1_21merge_config_selectorINS0_5tupleIJifEEENS0_10empty_typeEEEZNS1_10merge_implIS3_NS0_12zip_iteratorINS5_IJN6thrust23THRUST_200600_302600_NS6detail15normal_iteratorINSC_10device_ptrIKiEEEENSE_INSF_IKfEEEEEEEEESN_NSA_INS5_IJNSE_INSF_IiEEEENSE_INSF_IfEEEEEEEEEPS7_SU_SU_NSC_11hip_rocprim7__merge17predicate_wrapperIifNSC_4lessIiEEEEEE10hipError_tPvRmT0_T1_T2_T3_T4_T5_mmT6_P12ihipStream_tbEUlT_E0_NS1_11comp_targetILNS1_3genE10ELNS1_11target_archE1200ELNS1_3gpuE4ELNS1_3repE0EEENS1_30default_config_static_selectorELNS0_4arch9wavefront6targetE0EEEvS15_
	.p2align	8
	.type	_ZN7rocprim17ROCPRIM_400000_NS6detail17trampoline_kernelINS0_14default_configENS1_21merge_config_selectorINS0_5tupleIJifEEENS0_10empty_typeEEEZNS1_10merge_implIS3_NS0_12zip_iteratorINS5_IJN6thrust23THRUST_200600_302600_NS6detail15normal_iteratorINSC_10device_ptrIKiEEEENSE_INSF_IKfEEEEEEEEESN_NSA_INS5_IJNSE_INSF_IiEEEENSE_INSF_IfEEEEEEEEEPS7_SU_SU_NSC_11hip_rocprim7__merge17predicate_wrapperIifNSC_4lessIiEEEEEE10hipError_tPvRmT0_T1_T2_T3_T4_T5_mmT6_P12ihipStream_tbEUlT_E0_NS1_11comp_targetILNS1_3genE10ELNS1_11target_archE1200ELNS1_3gpuE4ELNS1_3repE0EEENS1_30default_config_static_selectorELNS0_4arch9wavefront6targetE0EEEvS15_,@function
_ZN7rocprim17ROCPRIM_400000_NS6detail17trampoline_kernelINS0_14default_configENS1_21merge_config_selectorINS0_5tupleIJifEEENS0_10empty_typeEEEZNS1_10merge_implIS3_NS0_12zip_iteratorINS5_IJN6thrust23THRUST_200600_302600_NS6detail15normal_iteratorINSC_10device_ptrIKiEEEENSE_INSF_IKfEEEEEEEEESN_NSA_INS5_IJNSE_INSF_IiEEEENSE_INSF_IfEEEEEEEEEPS7_SU_SU_NSC_11hip_rocprim7__merge17predicate_wrapperIifNSC_4lessIiEEEEEE10hipError_tPvRmT0_T1_T2_T3_T4_T5_mmT6_P12ihipStream_tbEUlT_E0_NS1_11comp_targetILNS1_3genE10ELNS1_11target_archE1200ELNS1_3gpuE4ELNS1_3repE0EEENS1_30default_config_static_selectorELNS0_4arch9wavefront6targetE0EEEvS15_: ; @_ZN7rocprim17ROCPRIM_400000_NS6detail17trampoline_kernelINS0_14default_configENS1_21merge_config_selectorINS0_5tupleIJifEEENS0_10empty_typeEEEZNS1_10merge_implIS3_NS0_12zip_iteratorINS5_IJN6thrust23THRUST_200600_302600_NS6detail15normal_iteratorINSC_10device_ptrIKiEEEENSE_INSF_IKfEEEEEEEEESN_NSA_INS5_IJNSE_INSF_IiEEEENSE_INSF_IfEEEEEEEEEPS7_SU_SU_NSC_11hip_rocprim7__merge17predicate_wrapperIifNSC_4lessIiEEEEEE10hipError_tPvRmT0_T1_T2_T3_T4_T5_mmT6_P12ihipStream_tbEUlT_E0_NS1_11comp_targetILNS1_3genE10ELNS1_11target_archE1200ELNS1_3gpuE4ELNS1_3repE0EEENS1_30default_config_static_selectorELNS0_4arch9wavefront6targetE0EEEvS15_
; %bb.0:
	.section	.rodata,"a",@progbits
	.p2align	6, 0x0
	.amdhsa_kernel _ZN7rocprim17ROCPRIM_400000_NS6detail17trampoline_kernelINS0_14default_configENS1_21merge_config_selectorINS0_5tupleIJifEEENS0_10empty_typeEEEZNS1_10merge_implIS3_NS0_12zip_iteratorINS5_IJN6thrust23THRUST_200600_302600_NS6detail15normal_iteratorINSC_10device_ptrIKiEEEENSE_INSF_IKfEEEEEEEEESN_NSA_INS5_IJNSE_INSF_IiEEEENSE_INSF_IfEEEEEEEEEPS7_SU_SU_NSC_11hip_rocprim7__merge17predicate_wrapperIifNSC_4lessIiEEEEEE10hipError_tPvRmT0_T1_T2_T3_T4_T5_mmT6_P12ihipStream_tbEUlT_E0_NS1_11comp_targetILNS1_3genE10ELNS1_11target_archE1200ELNS1_3gpuE4ELNS1_3repE0EEENS1_30default_config_static_selectorELNS0_4arch9wavefront6targetE0EEEvS15_
		.amdhsa_group_segment_fixed_size 0
		.amdhsa_private_segment_fixed_size 0
		.amdhsa_kernarg_size 112
		.amdhsa_user_sgpr_count 6
		.amdhsa_user_sgpr_private_segment_buffer 1
		.amdhsa_user_sgpr_dispatch_ptr 0
		.amdhsa_user_sgpr_queue_ptr 0
		.amdhsa_user_sgpr_kernarg_segment_ptr 1
		.amdhsa_user_sgpr_dispatch_id 0
		.amdhsa_user_sgpr_flat_scratch_init 0
		.amdhsa_user_sgpr_private_segment_size 0
		.amdhsa_wavefront_size32 1
		.amdhsa_uses_dynamic_stack 0
		.amdhsa_system_sgpr_private_segment_wavefront_offset 0
		.amdhsa_system_sgpr_workgroup_id_x 1
		.amdhsa_system_sgpr_workgroup_id_y 0
		.amdhsa_system_sgpr_workgroup_id_z 0
		.amdhsa_system_sgpr_workgroup_info 0
		.amdhsa_system_vgpr_workitem_id 0
		.amdhsa_next_free_vgpr 1
		.amdhsa_next_free_sgpr 1
		.amdhsa_reserve_vcc 0
		.amdhsa_reserve_flat_scratch 0
		.amdhsa_float_round_mode_32 0
		.amdhsa_float_round_mode_16_64 0
		.amdhsa_float_denorm_mode_32 3
		.amdhsa_float_denorm_mode_16_64 3
		.amdhsa_dx10_clamp 1
		.amdhsa_ieee_mode 1
		.amdhsa_fp16_overflow 0
		.amdhsa_workgroup_processor_mode 1
		.amdhsa_memory_ordered 1
		.amdhsa_forward_progress 1
		.amdhsa_shared_vgpr_count 0
		.amdhsa_exception_fp_ieee_invalid_op 0
		.amdhsa_exception_fp_denorm_src 0
		.amdhsa_exception_fp_ieee_div_zero 0
		.amdhsa_exception_fp_ieee_overflow 0
		.amdhsa_exception_fp_ieee_underflow 0
		.amdhsa_exception_fp_ieee_inexact 0
		.amdhsa_exception_int_div_zero 0
	.end_amdhsa_kernel
	.section	.text._ZN7rocprim17ROCPRIM_400000_NS6detail17trampoline_kernelINS0_14default_configENS1_21merge_config_selectorINS0_5tupleIJifEEENS0_10empty_typeEEEZNS1_10merge_implIS3_NS0_12zip_iteratorINS5_IJN6thrust23THRUST_200600_302600_NS6detail15normal_iteratorINSC_10device_ptrIKiEEEENSE_INSF_IKfEEEEEEEEESN_NSA_INS5_IJNSE_INSF_IiEEEENSE_INSF_IfEEEEEEEEEPS7_SU_SU_NSC_11hip_rocprim7__merge17predicate_wrapperIifNSC_4lessIiEEEEEE10hipError_tPvRmT0_T1_T2_T3_T4_T5_mmT6_P12ihipStream_tbEUlT_E0_NS1_11comp_targetILNS1_3genE10ELNS1_11target_archE1200ELNS1_3gpuE4ELNS1_3repE0EEENS1_30default_config_static_selectorELNS0_4arch9wavefront6targetE0EEEvS15_,"axG",@progbits,_ZN7rocprim17ROCPRIM_400000_NS6detail17trampoline_kernelINS0_14default_configENS1_21merge_config_selectorINS0_5tupleIJifEEENS0_10empty_typeEEEZNS1_10merge_implIS3_NS0_12zip_iteratorINS5_IJN6thrust23THRUST_200600_302600_NS6detail15normal_iteratorINSC_10device_ptrIKiEEEENSE_INSF_IKfEEEEEEEEESN_NSA_INS5_IJNSE_INSF_IiEEEENSE_INSF_IfEEEEEEEEEPS7_SU_SU_NSC_11hip_rocprim7__merge17predicate_wrapperIifNSC_4lessIiEEEEEE10hipError_tPvRmT0_T1_T2_T3_T4_T5_mmT6_P12ihipStream_tbEUlT_E0_NS1_11comp_targetILNS1_3genE10ELNS1_11target_archE1200ELNS1_3gpuE4ELNS1_3repE0EEENS1_30default_config_static_selectorELNS0_4arch9wavefront6targetE0EEEvS15_,comdat
.Lfunc_end17:
	.size	_ZN7rocprim17ROCPRIM_400000_NS6detail17trampoline_kernelINS0_14default_configENS1_21merge_config_selectorINS0_5tupleIJifEEENS0_10empty_typeEEEZNS1_10merge_implIS3_NS0_12zip_iteratorINS5_IJN6thrust23THRUST_200600_302600_NS6detail15normal_iteratorINSC_10device_ptrIKiEEEENSE_INSF_IKfEEEEEEEEESN_NSA_INS5_IJNSE_INSF_IiEEEENSE_INSF_IfEEEEEEEEEPS7_SU_SU_NSC_11hip_rocprim7__merge17predicate_wrapperIifNSC_4lessIiEEEEEE10hipError_tPvRmT0_T1_T2_T3_T4_T5_mmT6_P12ihipStream_tbEUlT_E0_NS1_11comp_targetILNS1_3genE10ELNS1_11target_archE1200ELNS1_3gpuE4ELNS1_3repE0EEENS1_30default_config_static_selectorELNS0_4arch9wavefront6targetE0EEEvS15_, .Lfunc_end17-_ZN7rocprim17ROCPRIM_400000_NS6detail17trampoline_kernelINS0_14default_configENS1_21merge_config_selectorINS0_5tupleIJifEEENS0_10empty_typeEEEZNS1_10merge_implIS3_NS0_12zip_iteratorINS5_IJN6thrust23THRUST_200600_302600_NS6detail15normal_iteratorINSC_10device_ptrIKiEEEENSE_INSF_IKfEEEEEEEEESN_NSA_INS5_IJNSE_INSF_IiEEEENSE_INSF_IfEEEEEEEEEPS7_SU_SU_NSC_11hip_rocprim7__merge17predicate_wrapperIifNSC_4lessIiEEEEEE10hipError_tPvRmT0_T1_T2_T3_T4_T5_mmT6_P12ihipStream_tbEUlT_E0_NS1_11comp_targetILNS1_3genE10ELNS1_11target_archE1200ELNS1_3gpuE4ELNS1_3repE0EEENS1_30default_config_static_selectorELNS0_4arch9wavefront6targetE0EEEvS15_
                                        ; -- End function
	.set _ZN7rocprim17ROCPRIM_400000_NS6detail17trampoline_kernelINS0_14default_configENS1_21merge_config_selectorINS0_5tupleIJifEEENS0_10empty_typeEEEZNS1_10merge_implIS3_NS0_12zip_iteratorINS5_IJN6thrust23THRUST_200600_302600_NS6detail15normal_iteratorINSC_10device_ptrIKiEEEENSE_INSF_IKfEEEEEEEEESN_NSA_INS5_IJNSE_INSF_IiEEEENSE_INSF_IfEEEEEEEEEPS7_SU_SU_NSC_11hip_rocprim7__merge17predicate_wrapperIifNSC_4lessIiEEEEEE10hipError_tPvRmT0_T1_T2_T3_T4_T5_mmT6_P12ihipStream_tbEUlT_E0_NS1_11comp_targetILNS1_3genE10ELNS1_11target_archE1200ELNS1_3gpuE4ELNS1_3repE0EEENS1_30default_config_static_selectorELNS0_4arch9wavefront6targetE0EEEvS15_.num_vgpr, 0
	.set _ZN7rocprim17ROCPRIM_400000_NS6detail17trampoline_kernelINS0_14default_configENS1_21merge_config_selectorINS0_5tupleIJifEEENS0_10empty_typeEEEZNS1_10merge_implIS3_NS0_12zip_iteratorINS5_IJN6thrust23THRUST_200600_302600_NS6detail15normal_iteratorINSC_10device_ptrIKiEEEENSE_INSF_IKfEEEEEEEEESN_NSA_INS5_IJNSE_INSF_IiEEEENSE_INSF_IfEEEEEEEEEPS7_SU_SU_NSC_11hip_rocprim7__merge17predicate_wrapperIifNSC_4lessIiEEEEEE10hipError_tPvRmT0_T1_T2_T3_T4_T5_mmT6_P12ihipStream_tbEUlT_E0_NS1_11comp_targetILNS1_3genE10ELNS1_11target_archE1200ELNS1_3gpuE4ELNS1_3repE0EEENS1_30default_config_static_selectorELNS0_4arch9wavefront6targetE0EEEvS15_.num_agpr, 0
	.set _ZN7rocprim17ROCPRIM_400000_NS6detail17trampoline_kernelINS0_14default_configENS1_21merge_config_selectorINS0_5tupleIJifEEENS0_10empty_typeEEEZNS1_10merge_implIS3_NS0_12zip_iteratorINS5_IJN6thrust23THRUST_200600_302600_NS6detail15normal_iteratorINSC_10device_ptrIKiEEEENSE_INSF_IKfEEEEEEEEESN_NSA_INS5_IJNSE_INSF_IiEEEENSE_INSF_IfEEEEEEEEEPS7_SU_SU_NSC_11hip_rocprim7__merge17predicate_wrapperIifNSC_4lessIiEEEEEE10hipError_tPvRmT0_T1_T2_T3_T4_T5_mmT6_P12ihipStream_tbEUlT_E0_NS1_11comp_targetILNS1_3genE10ELNS1_11target_archE1200ELNS1_3gpuE4ELNS1_3repE0EEENS1_30default_config_static_selectorELNS0_4arch9wavefront6targetE0EEEvS15_.numbered_sgpr, 0
	.set _ZN7rocprim17ROCPRIM_400000_NS6detail17trampoline_kernelINS0_14default_configENS1_21merge_config_selectorINS0_5tupleIJifEEENS0_10empty_typeEEEZNS1_10merge_implIS3_NS0_12zip_iteratorINS5_IJN6thrust23THRUST_200600_302600_NS6detail15normal_iteratorINSC_10device_ptrIKiEEEENSE_INSF_IKfEEEEEEEEESN_NSA_INS5_IJNSE_INSF_IiEEEENSE_INSF_IfEEEEEEEEEPS7_SU_SU_NSC_11hip_rocprim7__merge17predicate_wrapperIifNSC_4lessIiEEEEEE10hipError_tPvRmT0_T1_T2_T3_T4_T5_mmT6_P12ihipStream_tbEUlT_E0_NS1_11comp_targetILNS1_3genE10ELNS1_11target_archE1200ELNS1_3gpuE4ELNS1_3repE0EEENS1_30default_config_static_selectorELNS0_4arch9wavefront6targetE0EEEvS15_.num_named_barrier, 0
	.set _ZN7rocprim17ROCPRIM_400000_NS6detail17trampoline_kernelINS0_14default_configENS1_21merge_config_selectorINS0_5tupleIJifEEENS0_10empty_typeEEEZNS1_10merge_implIS3_NS0_12zip_iteratorINS5_IJN6thrust23THRUST_200600_302600_NS6detail15normal_iteratorINSC_10device_ptrIKiEEEENSE_INSF_IKfEEEEEEEEESN_NSA_INS5_IJNSE_INSF_IiEEEENSE_INSF_IfEEEEEEEEEPS7_SU_SU_NSC_11hip_rocprim7__merge17predicate_wrapperIifNSC_4lessIiEEEEEE10hipError_tPvRmT0_T1_T2_T3_T4_T5_mmT6_P12ihipStream_tbEUlT_E0_NS1_11comp_targetILNS1_3genE10ELNS1_11target_archE1200ELNS1_3gpuE4ELNS1_3repE0EEENS1_30default_config_static_selectorELNS0_4arch9wavefront6targetE0EEEvS15_.private_seg_size, 0
	.set _ZN7rocprim17ROCPRIM_400000_NS6detail17trampoline_kernelINS0_14default_configENS1_21merge_config_selectorINS0_5tupleIJifEEENS0_10empty_typeEEEZNS1_10merge_implIS3_NS0_12zip_iteratorINS5_IJN6thrust23THRUST_200600_302600_NS6detail15normal_iteratorINSC_10device_ptrIKiEEEENSE_INSF_IKfEEEEEEEEESN_NSA_INS5_IJNSE_INSF_IiEEEENSE_INSF_IfEEEEEEEEEPS7_SU_SU_NSC_11hip_rocprim7__merge17predicate_wrapperIifNSC_4lessIiEEEEEE10hipError_tPvRmT0_T1_T2_T3_T4_T5_mmT6_P12ihipStream_tbEUlT_E0_NS1_11comp_targetILNS1_3genE10ELNS1_11target_archE1200ELNS1_3gpuE4ELNS1_3repE0EEENS1_30default_config_static_selectorELNS0_4arch9wavefront6targetE0EEEvS15_.uses_vcc, 0
	.set _ZN7rocprim17ROCPRIM_400000_NS6detail17trampoline_kernelINS0_14default_configENS1_21merge_config_selectorINS0_5tupleIJifEEENS0_10empty_typeEEEZNS1_10merge_implIS3_NS0_12zip_iteratorINS5_IJN6thrust23THRUST_200600_302600_NS6detail15normal_iteratorINSC_10device_ptrIKiEEEENSE_INSF_IKfEEEEEEEEESN_NSA_INS5_IJNSE_INSF_IiEEEENSE_INSF_IfEEEEEEEEEPS7_SU_SU_NSC_11hip_rocprim7__merge17predicate_wrapperIifNSC_4lessIiEEEEEE10hipError_tPvRmT0_T1_T2_T3_T4_T5_mmT6_P12ihipStream_tbEUlT_E0_NS1_11comp_targetILNS1_3genE10ELNS1_11target_archE1200ELNS1_3gpuE4ELNS1_3repE0EEENS1_30default_config_static_selectorELNS0_4arch9wavefront6targetE0EEEvS15_.uses_flat_scratch, 0
	.set _ZN7rocprim17ROCPRIM_400000_NS6detail17trampoline_kernelINS0_14default_configENS1_21merge_config_selectorINS0_5tupleIJifEEENS0_10empty_typeEEEZNS1_10merge_implIS3_NS0_12zip_iteratorINS5_IJN6thrust23THRUST_200600_302600_NS6detail15normal_iteratorINSC_10device_ptrIKiEEEENSE_INSF_IKfEEEEEEEEESN_NSA_INS5_IJNSE_INSF_IiEEEENSE_INSF_IfEEEEEEEEEPS7_SU_SU_NSC_11hip_rocprim7__merge17predicate_wrapperIifNSC_4lessIiEEEEEE10hipError_tPvRmT0_T1_T2_T3_T4_T5_mmT6_P12ihipStream_tbEUlT_E0_NS1_11comp_targetILNS1_3genE10ELNS1_11target_archE1200ELNS1_3gpuE4ELNS1_3repE0EEENS1_30default_config_static_selectorELNS0_4arch9wavefront6targetE0EEEvS15_.has_dyn_sized_stack, 0
	.set _ZN7rocprim17ROCPRIM_400000_NS6detail17trampoline_kernelINS0_14default_configENS1_21merge_config_selectorINS0_5tupleIJifEEENS0_10empty_typeEEEZNS1_10merge_implIS3_NS0_12zip_iteratorINS5_IJN6thrust23THRUST_200600_302600_NS6detail15normal_iteratorINSC_10device_ptrIKiEEEENSE_INSF_IKfEEEEEEEEESN_NSA_INS5_IJNSE_INSF_IiEEEENSE_INSF_IfEEEEEEEEEPS7_SU_SU_NSC_11hip_rocprim7__merge17predicate_wrapperIifNSC_4lessIiEEEEEE10hipError_tPvRmT0_T1_T2_T3_T4_T5_mmT6_P12ihipStream_tbEUlT_E0_NS1_11comp_targetILNS1_3genE10ELNS1_11target_archE1200ELNS1_3gpuE4ELNS1_3repE0EEENS1_30default_config_static_selectorELNS0_4arch9wavefront6targetE0EEEvS15_.has_recursion, 0
	.set _ZN7rocprim17ROCPRIM_400000_NS6detail17trampoline_kernelINS0_14default_configENS1_21merge_config_selectorINS0_5tupleIJifEEENS0_10empty_typeEEEZNS1_10merge_implIS3_NS0_12zip_iteratorINS5_IJN6thrust23THRUST_200600_302600_NS6detail15normal_iteratorINSC_10device_ptrIKiEEEENSE_INSF_IKfEEEEEEEEESN_NSA_INS5_IJNSE_INSF_IiEEEENSE_INSF_IfEEEEEEEEEPS7_SU_SU_NSC_11hip_rocprim7__merge17predicate_wrapperIifNSC_4lessIiEEEEEE10hipError_tPvRmT0_T1_T2_T3_T4_T5_mmT6_P12ihipStream_tbEUlT_E0_NS1_11comp_targetILNS1_3genE10ELNS1_11target_archE1200ELNS1_3gpuE4ELNS1_3repE0EEENS1_30default_config_static_selectorELNS0_4arch9wavefront6targetE0EEEvS15_.has_indirect_call, 0
	.section	.AMDGPU.csdata,"",@progbits
; Kernel info:
; codeLenInByte = 0
; TotalNumSgprs: 0
; NumVgprs: 0
; ScratchSize: 0
; MemoryBound: 0
; FloatMode: 240
; IeeeMode: 1
; LDSByteSize: 0 bytes/workgroup (compile time only)
; SGPRBlocks: 0
; VGPRBlocks: 0
; NumSGPRsForWavesPerEU: 1
; NumVGPRsForWavesPerEU: 1
; Occupancy: 16
; WaveLimiterHint : 0
; COMPUTE_PGM_RSRC2:SCRATCH_EN: 0
; COMPUTE_PGM_RSRC2:USER_SGPR: 6
; COMPUTE_PGM_RSRC2:TRAP_HANDLER: 0
; COMPUTE_PGM_RSRC2:TGID_X_EN: 1
; COMPUTE_PGM_RSRC2:TGID_Y_EN: 0
; COMPUTE_PGM_RSRC2:TGID_Z_EN: 0
; COMPUTE_PGM_RSRC2:TIDIG_COMP_CNT: 0
	.section	.text._ZN7rocprim17ROCPRIM_400000_NS6detail17trampoline_kernelINS0_14default_configENS1_21merge_config_selectorINS0_5tupleIJifEEENS0_10empty_typeEEEZNS1_10merge_implIS3_NS0_12zip_iteratorINS5_IJN6thrust23THRUST_200600_302600_NS6detail15normal_iteratorINSC_10device_ptrIKiEEEENSE_INSF_IKfEEEEEEEEESN_NSA_INS5_IJNSE_INSF_IiEEEENSE_INSF_IfEEEEEEEEEPS7_SU_SU_NSC_11hip_rocprim7__merge17predicate_wrapperIifNSC_4lessIiEEEEEE10hipError_tPvRmT0_T1_T2_T3_T4_T5_mmT6_P12ihipStream_tbEUlT_E0_NS1_11comp_targetILNS1_3genE9ELNS1_11target_archE1100ELNS1_3gpuE3ELNS1_3repE0EEENS1_30default_config_static_selectorELNS0_4arch9wavefront6targetE0EEEvS15_,"axG",@progbits,_ZN7rocprim17ROCPRIM_400000_NS6detail17trampoline_kernelINS0_14default_configENS1_21merge_config_selectorINS0_5tupleIJifEEENS0_10empty_typeEEEZNS1_10merge_implIS3_NS0_12zip_iteratorINS5_IJN6thrust23THRUST_200600_302600_NS6detail15normal_iteratorINSC_10device_ptrIKiEEEENSE_INSF_IKfEEEEEEEEESN_NSA_INS5_IJNSE_INSF_IiEEEENSE_INSF_IfEEEEEEEEEPS7_SU_SU_NSC_11hip_rocprim7__merge17predicate_wrapperIifNSC_4lessIiEEEEEE10hipError_tPvRmT0_T1_T2_T3_T4_T5_mmT6_P12ihipStream_tbEUlT_E0_NS1_11comp_targetILNS1_3genE9ELNS1_11target_archE1100ELNS1_3gpuE3ELNS1_3repE0EEENS1_30default_config_static_selectorELNS0_4arch9wavefront6targetE0EEEvS15_,comdat
	.protected	_ZN7rocprim17ROCPRIM_400000_NS6detail17trampoline_kernelINS0_14default_configENS1_21merge_config_selectorINS0_5tupleIJifEEENS0_10empty_typeEEEZNS1_10merge_implIS3_NS0_12zip_iteratorINS5_IJN6thrust23THRUST_200600_302600_NS6detail15normal_iteratorINSC_10device_ptrIKiEEEENSE_INSF_IKfEEEEEEEEESN_NSA_INS5_IJNSE_INSF_IiEEEENSE_INSF_IfEEEEEEEEEPS7_SU_SU_NSC_11hip_rocprim7__merge17predicate_wrapperIifNSC_4lessIiEEEEEE10hipError_tPvRmT0_T1_T2_T3_T4_T5_mmT6_P12ihipStream_tbEUlT_E0_NS1_11comp_targetILNS1_3genE9ELNS1_11target_archE1100ELNS1_3gpuE3ELNS1_3repE0EEENS1_30default_config_static_selectorELNS0_4arch9wavefront6targetE0EEEvS15_ ; -- Begin function _ZN7rocprim17ROCPRIM_400000_NS6detail17trampoline_kernelINS0_14default_configENS1_21merge_config_selectorINS0_5tupleIJifEEENS0_10empty_typeEEEZNS1_10merge_implIS3_NS0_12zip_iteratorINS5_IJN6thrust23THRUST_200600_302600_NS6detail15normal_iteratorINSC_10device_ptrIKiEEEENSE_INSF_IKfEEEEEEEEESN_NSA_INS5_IJNSE_INSF_IiEEEENSE_INSF_IfEEEEEEEEEPS7_SU_SU_NSC_11hip_rocprim7__merge17predicate_wrapperIifNSC_4lessIiEEEEEE10hipError_tPvRmT0_T1_T2_T3_T4_T5_mmT6_P12ihipStream_tbEUlT_E0_NS1_11comp_targetILNS1_3genE9ELNS1_11target_archE1100ELNS1_3gpuE3ELNS1_3repE0EEENS1_30default_config_static_selectorELNS0_4arch9wavefront6targetE0EEEvS15_
	.globl	_ZN7rocprim17ROCPRIM_400000_NS6detail17trampoline_kernelINS0_14default_configENS1_21merge_config_selectorINS0_5tupleIJifEEENS0_10empty_typeEEEZNS1_10merge_implIS3_NS0_12zip_iteratorINS5_IJN6thrust23THRUST_200600_302600_NS6detail15normal_iteratorINSC_10device_ptrIKiEEEENSE_INSF_IKfEEEEEEEEESN_NSA_INS5_IJNSE_INSF_IiEEEENSE_INSF_IfEEEEEEEEEPS7_SU_SU_NSC_11hip_rocprim7__merge17predicate_wrapperIifNSC_4lessIiEEEEEE10hipError_tPvRmT0_T1_T2_T3_T4_T5_mmT6_P12ihipStream_tbEUlT_E0_NS1_11comp_targetILNS1_3genE9ELNS1_11target_archE1100ELNS1_3gpuE3ELNS1_3repE0EEENS1_30default_config_static_selectorELNS0_4arch9wavefront6targetE0EEEvS15_
	.p2align	8
	.type	_ZN7rocprim17ROCPRIM_400000_NS6detail17trampoline_kernelINS0_14default_configENS1_21merge_config_selectorINS0_5tupleIJifEEENS0_10empty_typeEEEZNS1_10merge_implIS3_NS0_12zip_iteratorINS5_IJN6thrust23THRUST_200600_302600_NS6detail15normal_iteratorINSC_10device_ptrIKiEEEENSE_INSF_IKfEEEEEEEEESN_NSA_INS5_IJNSE_INSF_IiEEEENSE_INSF_IfEEEEEEEEEPS7_SU_SU_NSC_11hip_rocprim7__merge17predicate_wrapperIifNSC_4lessIiEEEEEE10hipError_tPvRmT0_T1_T2_T3_T4_T5_mmT6_P12ihipStream_tbEUlT_E0_NS1_11comp_targetILNS1_3genE9ELNS1_11target_archE1100ELNS1_3gpuE3ELNS1_3repE0EEENS1_30default_config_static_selectorELNS0_4arch9wavefront6targetE0EEEvS15_,@function
_ZN7rocprim17ROCPRIM_400000_NS6detail17trampoline_kernelINS0_14default_configENS1_21merge_config_selectorINS0_5tupleIJifEEENS0_10empty_typeEEEZNS1_10merge_implIS3_NS0_12zip_iteratorINS5_IJN6thrust23THRUST_200600_302600_NS6detail15normal_iteratorINSC_10device_ptrIKiEEEENSE_INSF_IKfEEEEEEEEESN_NSA_INS5_IJNSE_INSF_IiEEEENSE_INSF_IfEEEEEEEEEPS7_SU_SU_NSC_11hip_rocprim7__merge17predicate_wrapperIifNSC_4lessIiEEEEEE10hipError_tPvRmT0_T1_T2_T3_T4_T5_mmT6_P12ihipStream_tbEUlT_E0_NS1_11comp_targetILNS1_3genE9ELNS1_11target_archE1100ELNS1_3gpuE3ELNS1_3repE0EEENS1_30default_config_static_selectorELNS0_4arch9wavefront6targetE0EEEvS15_: ; @_ZN7rocprim17ROCPRIM_400000_NS6detail17trampoline_kernelINS0_14default_configENS1_21merge_config_selectorINS0_5tupleIJifEEENS0_10empty_typeEEEZNS1_10merge_implIS3_NS0_12zip_iteratorINS5_IJN6thrust23THRUST_200600_302600_NS6detail15normal_iteratorINSC_10device_ptrIKiEEEENSE_INSF_IKfEEEEEEEEESN_NSA_INS5_IJNSE_INSF_IiEEEENSE_INSF_IfEEEEEEEEEPS7_SU_SU_NSC_11hip_rocprim7__merge17predicate_wrapperIifNSC_4lessIiEEEEEE10hipError_tPvRmT0_T1_T2_T3_T4_T5_mmT6_P12ihipStream_tbEUlT_E0_NS1_11comp_targetILNS1_3genE9ELNS1_11target_archE1100ELNS1_3gpuE3ELNS1_3repE0EEENS1_30default_config_static_selectorELNS0_4arch9wavefront6targetE0EEEvS15_
; %bb.0:
	.section	.rodata,"a",@progbits
	.p2align	6, 0x0
	.amdhsa_kernel _ZN7rocprim17ROCPRIM_400000_NS6detail17trampoline_kernelINS0_14default_configENS1_21merge_config_selectorINS0_5tupleIJifEEENS0_10empty_typeEEEZNS1_10merge_implIS3_NS0_12zip_iteratorINS5_IJN6thrust23THRUST_200600_302600_NS6detail15normal_iteratorINSC_10device_ptrIKiEEEENSE_INSF_IKfEEEEEEEEESN_NSA_INS5_IJNSE_INSF_IiEEEENSE_INSF_IfEEEEEEEEEPS7_SU_SU_NSC_11hip_rocprim7__merge17predicate_wrapperIifNSC_4lessIiEEEEEE10hipError_tPvRmT0_T1_T2_T3_T4_T5_mmT6_P12ihipStream_tbEUlT_E0_NS1_11comp_targetILNS1_3genE9ELNS1_11target_archE1100ELNS1_3gpuE3ELNS1_3repE0EEENS1_30default_config_static_selectorELNS0_4arch9wavefront6targetE0EEEvS15_
		.amdhsa_group_segment_fixed_size 0
		.amdhsa_private_segment_fixed_size 0
		.amdhsa_kernarg_size 112
		.amdhsa_user_sgpr_count 6
		.amdhsa_user_sgpr_private_segment_buffer 1
		.amdhsa_user_sgpr_dispatch_ptr 0
		.amdhsa_user_sgpr_queue_ptr 0
		.amdhsa_user_sgpr_kernarg_segment_ptr 1
		.amdhsa_user_sgpr_dispatch_id 0
		.amdhsa_user_sgpr_flat_scratch_init 0
		.amdhsa_user_sgpr_private_segment_size 0
		.amdhsa_wavefront_size32 1
		.amdhsa_uses_dynamic_stack 0
		.amdhsa_system_sgpr_private_segment_wavefront_offset 0
		.amdhsa_system_sgpr_workgroup_id_x 1
		.amdhsa_system_sgpr_workgroup_id_y 0
		.amdhsa_system_sgpr_workgroup_id_z 0
		.amdhsa_system_sgpr_workgroup_info 0
		.amdhsa_system_vgpr_workitem_id 0
		.amdhsa_next_free_vgpr 1
		.amdhsa_next_free_sgpr 1
		.amdhsa_reserve_vcc 0
		.amdhsa_reserve_flat_scratch 0
		.amdhsa_float_round_mode_32 0
		.amdhsa_float_round_mode_16_64 0
		.amdhsa_float_denorm_mode_32 3
		.amdhsa_float_denorm_mode_16_64 3
		.amdhsa_dx10_clamp 1
		.amdhsa_ieee_mode 1
		.amdhsa_fp16_overflow 0
		.amdhsa_workgroup_processor_mode 1
		.amdhsa_memory_ordered 1
		.amdhsa_forward_progress 1
		.amdhsa_shared_vgpr_count 0
		.amdhsa_exception_fp_ieee_invalid_op 0
		.amdhsa_exception_fp_denorm_src 0
		.amdhsa_exception_fp_ieee_div_zero 0
		.amdhsa_exception_fp_ieee_overflow 0
		.amdhsa_exception_fp_ieee_underflow 0
		.amdhsa_exception_fp_ieee_inexact 0
		.amdhsa_exception_int_div_zero 0
	.end_amdhsa_kernel
	.section	.text._ZN7rocprim17ROCPRIM_400000_NS6detail17trampoline_kernelINS0_14default_configENS1_21merge_config_selectorINS0_5tupleIJifEEENS0_10empty_typeEEEZNS1_10merge_implIS3_NS0_12zip_iteratorINS5_IJN6thrust23THRUST_200600_302600_NS6detail15normal_iteratorINSC_10device_ptrIKiEEEENSE_INSF_IKfEEEEEEEEESN_NSA_INS5_IJNSE_INSF_IiEEEENSE_INSF_IfEEEEEEEEEPS7_SU_SU_NSC_11hip_rocprim7__merge17predicate_wrapperIifNSC_4lessIiEEEEEE10hipError_tPvRmT0_T1_T2_T3_T4_T5_mmT6_P12ihipStream_tbEUlT_E0_NS1_11comp_targetILNS1_3genE9ELNS1_11target_archE1100ELNS1_3gpuE3ELNS1_3repE0EEENS1_30default_config_static_selectorELNS0_4arch9wavefront6targetE0EEEvS15_,"axG",@progbits,_ZN7rocprim17ROCPRIM_400000_NS6detail17trampoline_kernelINS0_14default_configENS1_21merge_config_selectorINS0_5tupleIJifEEENS0_10empty_typeEEEZNS1_10merge_implIS3_NS0_12zip_iteratorINS5_IJN6thrust23THRUST_200600_302600_NS6detail15normal_iteratorINSC_10device_ptrIKiEEEENSE_INSF_IKfEEEEEEEEESN_NSA_INS5_IJNSE_INSF_IiEEEENSE_INSF_IfEEEEEEEEEPS7_SU_SU_NSC_11hip_rocprim7__merge17predicate_wrapperIifNSC_4lessIiEEEEEE10hipError_tPvRmT0_T1_T2_T3_T4_T5_mmT6_P12ihipStream_tbEUlT_E0_NS1_11comp_targetILNS1_3genE9ELNS1_11target_archE1100ELNS1_3gpuE3ELNS1_3repE0EEENS1_30default_config_static_selectorELNS0_4arch9wavefront6targetE0EEEvS15_,comdat
.Lfunc_end18:
	.size	_ZN7rocprim17ROCPRIM_400000_NS6detail17trampoline_kernelINS0_14default_configENS1_21merge_config_selectorINS0_5tupleIJifEEENS0_10empty_typeEEEZNS1_10merge_implIS3_NS0_12zip_iteratorINS5_IJN6thrust23THRUST_200600_302600_NS6detail15normal_iteratorINSC_10device_ptrIKiEEEENSE_INSF_IKfEEEEEEEEESN_NSA_INS5_IJNSE_INSF_IiEEEENSE_INSF_IfEEEEEEEEEPS7_SU_SU_NSC_11hip_rocprim7__merge17predicate_wrapperIifNSC_4lessIiEEEEEE10hipError_tPvRmT0_T1_T2_T3_T4_T5_mmT6_P12ihipStream_tbEUlT_E0_NS1_11comp_targetILNS1_3genE9ELNS1_11target_archE1100ELNS1_3gpuE3ELNS1_3repE0EEENS1_30default_config_static_selectorELNS0_4arch9wavefront6targetE0EEEvS15_, .Lfunc_end18-_ZN7rocprim17ROCPRIM_400000_NS6detail17trampoline_kernelINS0_14default_configENS1_21merge_config_selectorINS0_5tupleIJifEEENS0_10empty_typeEEEZNS1_10merge_implIS3_NS0_12zip_iteratorINS5_IJN6thrust23THRUST_200600_302600_NS6detail15normal_iteratorINSC_10device_ptrIKiEEEENSE_INSF_IKfEEEEEEEEESN_NSA_INS5_IJNSE_INSF_IiEEEENSE_INSF_IfEEEEEEEEEPS7_SU_SU_NSC_11hip_rocprim7__merge17predicate_wrapperIifNSC_4lessIiEEEEEE10hipError_tPvRmT0_T1_T2_T3_T4_T5_mmT6_P12ihipStream_tbEUlT_E0_NS1_11comp_targetILNS1_3genE9ELNS1_11target_archE1100ELNS1_3gpuE3ELNS1_3repE0EEENS1_30default_config_static_selectorELNS0_4arch9wavefront6targetE0EEEvS15_
                                        ; -- End function
	.set _ZN7rocprim17ROCPRIM_400000_NS6detail17trampoline_kernelINS0_14default_configENS1_21merge_config_selectorINS0_5tupleIJifEEENS0_10empty_typeEEEZNS1_10merge_implIS3_NS0_12zip_iteratorINS5_IJN6thrust23THRUST_200600_302600_NS6detail15normal_iteratorINSC_10device_ptrIKiEEEENSE_INSF_IKfEEEEEEEEESN_NSA_INS5_IJNSE_INSF_IiEEEENSE_INSF_IfEEEEEEEEEPS7_SU_SU_NSC_11hip_rocprim7__merge17predicate_wrapperIifNSC_4lessIiEEEEEE10hipError_tPvRmT0_T1_T2_T3_T4_T5_mmT6_P12ihipStream_tbEUlT_E0_NS1_11comp_targetILNS1_3genE9ELNS1_11target_archE1100ELNS1_3gpuE3ELNS1_3repE0EEENS1_30default_config_static_selectorELNS0_4arch9wavefront6targetE0EEEvS15_.num_vgpr, 0
	.set _ZN7rocprim17ROCPRIM_400000_NS6detail17trampoline_kernelINS0_14default_configENS1_21merge_config_selectorINS0_5tupleIJifEEENS0_10empty_typeEEEZNS1_10merge_implIS3_NS0_12zip_iteratorINS5_IJN6thrust23THRUST_200600_302600_NS6detail15normal_iteratorINSC_10device_ptrIKiEEEENSE_INSF_IKfEEEEEEEEESN_NSA_INS5_IJNSE_INSF_IiEEEENSE_INSF_IfEEEEEEEEEPS7_SU_SU_NSC_11hip_rocprim7__merge17predicate_wrapperIifNSC_4lessIiEEEEEE10hipError_tPvRmT0_T1_T2_T3_T4_T5_mmT6_P12ihipStream_tbEUlT_E0_NS1_11comp_targetILNS1_3genE9ELNS1_11target_archE1100ELNS1_3gpuE3ELNS1_3repE0EEENS1_30default_config_static_selectorELNS0_4arch9wavefront6targetE0EEEvS15_.num_agpr, 0
	.set _ZN7rocprim17ROCPRIM_400000_NS6detail17trampoline_kernelINS0_14default_configENS1_21merge_config_selectorINS0_5tupleIJifEEENS0_10empty_typeEEEZNS1_10merge_implIS3_NS0_12zip_iteratorINS5_IJN6thrust23THRUST_200600_302600_NS6detail15normal_iteratorINSC_10device_ptrIKiEEEENSE_INSF_IKfEEEEEEEEESN_NSA_INS5_IJNSE_INSF_IiEEEENSE_INSF_IfEEEEEEEEEPS7_SU_SU_NSC_11hip_rocprim7__merge17predicate_wrapperIifNSC_4lessIiEEEEEE10hipError_tPvRmT0_T1_T2_T3_T4_T5_mmT6_P12ihipStream_tbEUlT_E0_NS1_11comp_targetILNS1_3genE9ELNS1_11target_archE1100ELNS1_3gpuE3ELNS1_3repE0EEENS1_30default_config_static_selectorELNS0_4arch9wavefront6targetE0EEEvS15_.numbered_sgpr, 0
	.set _ZN7rocprim17ROCPRIM_400000_NS6detail17trampoline_kernelINS0_14default_configENS1_21merge_config_selectorINS0_5tupleIJifEEENS0_10empty_typeEEEZNS1_10merge_implIS3_NS0_12zip_iteratorINS5_IJN6thrust23THRUST_200600_302600_NS6detail15normal_iteratorINSC_10device_ptrIKiEEEENSE_INSF_IKfEEEEEEEEESN_NSA_INS5_IJNSE_INSF_IiEEEENSE_INSF_IfEEEEEEEEEPS7_SU_SU_NSC_11hip_rocprim7__merge17predicate_wrapperIifNSC_4lessIiEEEEEE10hipError_tPvRmT0_T1_T2_T3_T4_T5_mmT6_P12ihipStream_tbEUlT_E0_NS1_11comp_targetILNS1_3genE9ELNS1_11target_archE1100ELNS1_3gpuE3ELNS1_3repE0EEENS1_30default_config_static_selectorELNS0_4arch9wavefront6targetE0EEEvS15_.num_named_barrier, 0
	.set _ZN7rocprim17ROCPRIM_400000_NS6detail17trampoline_kernelINS0_14default_configENS1_21merge_config_selectorINS0_5tupleIJifEEENS0_10empty_typeEEEZNS1_10merge_implIS3_NS0_12zip_iteratorINS5_IJN6thrust23THRUST_200600_302600_NS6detail15normal_iteratorINSC_10device_ptrIKiEEEENSE_INSF_IKfEEEEEEEEESN_NSA_INS5_IJNSE_INSF_IiEEEENSE_INSF_IfEEEEEEEEEPS7_SU_SU_NSC_11hip_rocprim7__merge17predicate_wrapperIifNSC_4lessIiEEEEEE10hipError_tPvRmT0_T1_T2_T3_T4_T5_mmT6_P12ihipStream_tbEUlT_E0_NS1_11comp_targetILNS1_3genE9ELNS1_11target_archE1100ELNS1_3gpuE3ELNS1_3repE0EEENS1_30default_config_static_selectorELNS0_4arch9wavefront6targetE0EEEvS15_.private_seg_size, 0
	.set _ZN7rocprim17ROCPRIM_400000_NS6detail17trampoline_kernelINS0_14default_configENS1_21merge_config_selectorINS0_5tupleIJifEEENS0_10empty_typeEEEZNS1_10merge_implIS3_NS0_12zip_iteratorINS5_IJN6thrust23THRUST_200600_302600_NS6detail15normal_iteratorINSC_10device_ptrIKiEEEENSE_INSF_IKfEEEEEEEEESN_NSA_INS5_IJNSE_INSF_IiEEEENSE_INSF_IfEEEEEEEEEPS7_SU_SU_NSC_11hip_rocprim7__merge17predicate_wrapperIifNSC_4lessIiEEEEEE10hipError_tPvRmT0_T1_T2_T3_T4_T5_mmT6_P12ihipStream_tbEUlT_E0_NS1_11comp_targetILNS1_3genE9ELNS1_11target_archE1100ELNS1_3gpuE3ELNS1_3repE0EEENS1_30default_config_static_selectorELNS0_4arch9wavefront6targetE0EEEvS15_.uses_vcc, 0
	.set _ZN7rocprim17ROCPRIM_400000_NS6detail17trampoline_kernelINS0_14default_configENS1_21merge_config_selectorINS0_5tupleIJifEEENS0_10empty_typeEEEZNS1_10merge_implIS3_NS0_12zip_iteratorINS5_IJN6thrust23THRUST_200600_302600_NS6detail15normal_iteratorINSC_10device_ptrIKiEEEENSE_INSF_IKfEEEEEEEEESN_NSA_INS5_IJNSE_INSF_IiEEEENSE_INSF_IfEEEEEEEEEPS7_SU_SU_NSC_11hip_rocprim7__merge17predicate_wrapperIifNSC_4lessIiEEEEEE10hipError_tPvRmT0_T1_T2_T3_T4_T5_mmT6_P12ihipStream_tbEUlT_E0_NS1_11comp_targetILNS1_3genE9ELNS1_11target_archE1100ELNS1_3gpuE3ELNS1_3repE0EEENS1_30default_config_static_selectorELNS0_4arch9wavefront6targetE0EEEvS15_.uses_flat_scratch, 0
	.set _ZN7rocprim17ROCPRIM_400000_NS6detail17trampoline_kernelINS0_14default_configENS1_21merge_config_selectorINS0_5tupleIJifEEENS0_10empty_typeEEEZNS1_10merge_implIS3_NS0_12zip_iteratorINS5_IJN6thrust23THRUST_200600_302600_NS6detail15normal_iteratorINSC_10device_ptrIKiEEEENSE_INSF_IKfEEEEEEEEESN_NSA_INS5_IJNSE_INSF_IiEEEENSE_INSF_IfEEEEEEEEEPS7_SU_SU_NSC_11hip_rocprim7__merge17predicate_wrapperIifNSC_4lessIiEEEEEE10hipError_tPvRmT0_T1_T2_T3_T4_T5_mmT6_P12ihipStream_tbEUlT_E0_NS1_11comp_targetILNS1_3genE9ELNS1_11target_archE1100ELNS1_3gpuE3ELNS1_3repE0EEENS1_30default_config_static_selectorELNS0_4arch9wavefront6targetE0EEEvS15_.has_dyn_sized_stack, 0
	.set _ZN7rocprim17ROCPRIM_400000_NS6detail17trampoline_kernelINS0_14default_configENS1_21merge_config_selectorINS0_5tupleIJifEEENS0_10empty_typeEEEZNS1_10merge_implIS3_NS0_12zip_iteratorINS5_IJN6thrust23THRUST_200600_302600_NS6detail15normal_iteratorINSC_10device_ptrIKiEEEENSE_INSF_IKfEEEEEEEEESN_NSA_INS5_IJNSE_INSF_IiEEEENSE_INSF_IfEEEEEEEEEPS7_SU_SU_NSC_11hip_rocprim7__merge17predicate_wrapperIifNSC_4lessIiEEEEEE10hipError_tPvRmT0_T1_T2_T3_T4_T5_mmT6_P12ihipStream_tbEUlT_E0_NS1_11comp_targetILNS1_3genE9ELNS1_11target_archE1100ELNS1_3gpuE3ELNS1_3repE0EEENS1_30default_config_static_selectorELNS0_4arch9wavefront6targetE0EEEvS15_.has_recursion, 0
	.set _ZN7rocprim17ROCPRIM_400000_NS6detail17trampoline_kernelINS0_14default_configENS1_21merge_config_selectorINS0_5tupleIJifEEENS0_10empty_typeEEEZNS1_10merge_implIS3_NS0_12zip_iteratorINS5_IJN6thrust23THRUST_200600_302600_NS6detail15normal_iteratorINSC_10device_ptrIKiEEEENSE_INSF_IKfEEEEEEEEESN_NSA_INS5_IJNSE_INSF_IiEEEENSE_INSF_IfEEEEEEEEEPS7_SU_SU_NSC_11hip_rocprim7__merge17predicate_wrapperIifNSC_4lessIiEEEEEE10hipError_tPvRmT0_T1_T2_T3_T4_T5_mmT6_P12ihipStream_tbEUlT_E0_NS1_11comp_targetILNS1_3genE9ELNS1_11target_archE1100ELNS1_3gpuE3ELNS1_3repE0EEENS1_30default_config_static_selectorELNS0_4arch9wavefront6targetE0EEEvS15_.has_indirect_call, 0
	.section	.AMDGPU.csdata,"",@progbits
; Kernel info:
; codeLenInByte = 0
; TotalNumSgprs: 0
; NumVgprs: 0
; ScratchSize: 0
; MemoryBound: 0
; FloatMode: 240
; IeeeMode: 1
; LDSByteSize: 0 bytes/workgroup (compile time only)
; SGPRBlocks: 0
; VGPRBlocks: 0
; NumSGPRsForWavesPerEU: 1
; NumVGPRsForWavesPerEU: 1
; Occupancy: 16
; WaveLimiterHint : 0
; COMPUTE_PGM_RSRC2:SCRATCH_EN: 0
; COMPUTE_PGM_RSRC2:USER_SGPR: 6
; COMPUTE_PGM_RSRC2:TRAP_HANDLER: 0
; COMPUTE_PGM_RSRC2:TGID_X_EN: 1
; COMPUTE_PGM_RSRC2:TGID_Y_EN: 0
; COMPUTE_PGM_RSRC2:TGID_Z_EN: 0
; COMPUTE_PGM_RSRC2:TIDIG_COMP_CNT: 0
	.section	.text._ZN7rocprim17ROCPRIM_400000_NS6detail17trampoline_kernelINS0_14default_configENS1_21merge_config_selectorINS0_5tupleIJifEEENS0_10empty_typeEEEZNS1_10merge_implIS3_NS0_12zip_iteratorINS5_IJN6thrust23THRUST_200600_302600_NS6detail15normal_iteratorINSC_10device_ptrIKiEEEENSE_INSF_IKfEEEEEEEEESN_NSA_INS5_IJNSE_INSF_IiEEEENSE_INSF_IfEEEEEEEEEPS7_SU_SU_NSC_11hip_rocprim7__merge17predicate_wrapperIifNSC_4lessIiEEEEEE10hipError_tPvRmT0_T1_T2_T3_T4_T5_mmT6_P12ihipStream_tbEUlT_E0_NS1_11comp_targetILNS1_3genE8ELNS1_11target_archE1030ELNS1_3gpuE2ELNS1_3repE0EEENS1_30default_config_static_selectorELNS0_4arch9wavefront6targetE0EEEvS15_,"axG",@progbits,_ZN7rocprim17ROCPRIM_400000_NS6detail17trampoline_kernelINS0_14default_configENS1_21merge_config_selectorINS0_5tupleIJifEEENS0_10empty_typeEEEZNS1_10merge_implIS3_NS0_12zip_iteratorINS5_IJN6thrust23THRUST_200600_302600_NS6detail15normal_iteratorINSC_10device_ptrIKiEEEENSE_INSF_IKfEEEEEEEEESN_NSA_INS5_IJNSE_INSF_IiEEEENSE_INSF_IfEEEEEEEEEPS7_SU_SU_NSC_11hip_rocprim7__merge17predicate_wrapperIifNSC_4lessIiEEEEEE10hipError_tPvRmT0_T1_T2_T3_T4_T5_mmT6_P12ihipStream_tbEUlT_E0_NS1_11comp_targetILNS1_3genE8ELNS1_11target_archE1030ELNS1_3gpuE2ELNS1_3repE0EEENS1_30default_config_static_selectorELNS0_4arch9wavefront6targetE0EEEvS15_,comdat
	.protected	_ZN7rocprim17ROCPRIM_400000_NS6detail17trampoline_kernelINS0_14default_configENS1_21merge_config_selectorINS0_5tupleIJifEEENS0_10empty_typeEEEZNS1_10merge_implIS3_NS0_12zip_iteratorINS5_IJN6thrust23THRUST_200600_302600_NS6detail15normal_iteratorINSC_10device_ptrIKiEEEENSE_INSF_IKfEEEEEEEEESN_NSA_INS5_IJNSE_INSF_IiEEEENSE_INSF_IfEEEEEEEEEPS7_SU_SU_NSC_11hip_rocprim7__merge17predicate_wrapperIifNSC_4lessIiEEEEEE10hipError_tPvRmT0_T1_T2_T3_T4_T5_mmT6_P12ihipStream_tbEUlT_E0_NS1_11comp_targetILNS1_3genE8ELNS1_11target_archE1030ELNS1_3gpuE2ELNS1_3repE0EEENS1_30default_config_static_selectorELNS0_4arch9wavefront6targetE0EEEvS15_ ; -- Begin function _ZN7rocprim17ROCPRIM_400000_NS6detail17trampoline_kernelINS0_14default_configENS1_21merge_config_selectorINS0_5tupleIJifEEENS0_10empty_typeEEEZNS1_10merge_implIS3_NS0_12zip_iteratorINS5_IJN6thrust23THRUST_200600_302600_NS6detail15normal_iteratorINSC_10device_ptrIKiEEEENSE_INSF_IKfEEEEEEEEESN_NSA_INS5_IJNSE_INSF_IiEEEENSE_INSF_IfEEEEEEEEEPS7_SU_SU_NSC_11hip_rocprim7__merge17predicate_wrapperIifNSC_4lessIiEEEEEE10hipError_tPvRmT0_T1_T2_T3_T4_T5_mmT6_P12ihipStream_tbEUlT_E0_NS1_11comp_targetILNS1_3genE8ELNS1_11target_archE1030ELNS1_3gpuE2ELNS1_3repE0EEENS1_30default_config_static_selectorELNS0_4arch9wavefront6targetE0EEEvS15_
	.globl	_ZN7rocprim17ROCPRIM_400000_NS6detail17trampoline_kernelINS0_14default_configENS1_21merge_config_selectorINS0_5tupleIJifEEENS0_10empty_typeEEEZNS1_10merge_implIS3_NS0_12zip_iteratorINS5_IJN6thrust23THRUST_200600_302600_NS6detail15normal_iteratorINSC_10device_ptrIKiEEEENSE_INSF_IKfEEEEEEEEESN_NSA_INS5_IJNSE_INSF_IiEEEENSE_INSF_IfEEEEEEEEEPS7_SU_SU_NSC_11hip_rocprim7__merge17predicate_wrapperIifNSC_4lessIiEEEEEE10hipError_tPvRmT0_T1_T2_T3_T4_T5_mmT6_P12ihipStream_tbEUlT_E0_NS1_11comp_targetILNS1_3genE8ELNS1_11target_archE1030ELNS1_3gpuE2ELNS1_3repE0EEENS1_30default_config_static_selectorELNS0_4arch9wavefront6targetE0EEEvS15_
	.p2align	8
	.type	_ZN7rocprim17ROCPRIM_400000_NS6detail17trampoline_kernelINS0_14default_configENS1_21merge_config_selectorINS0_5tupleIJifEEENS0_10empty_typeEEEZNS1_10merge_implIS3_NS0_12zip_iteratorINS5_IJN6thrust23THRUST_200600_302600_NS6detail15normal_iteratorINSC_10device_ptrIKiEEEENSE_INSF_IKfEEEEEEEEESN_NSA_INS5_IJNSE_INSF_IiEEEENSE_INSF_IfEEEEEEEEEPS7_SU_SU_NSC_11hip_rocprim7__merge17predicate_wrapperIifNSC_4lessIiEEEEEE10hipError_tPvRmT0_T1_T2_T3_T4_T5_mmT6_P12ihipStream_tbEUlT_E0_NS1_11comp_targetILNS1_3genE8ELNS1_11target_archE1030ELNS1_3gpuE2ELNS1_3repE0EEENS1_30default_config_static_selectorELNS0_4arch9wavefront6targetE0EEEvS15_,@function
_ZN7rocprim17ROCPRIM_400000_NS6detail17trampoline_kernelINS0_14default_configENS1_21merge_config_selectorINS0_5tupleIJifEEENS0_10empty_typeEEEZNS1_10merge_implIS3_NS0_12zip_iteratorINS5_IJN6thrust23THRUST_200600_302600_NS6detail15normal_iteratorINSC_10device_ptrIKiEEEENSE_INSF_IKfEEEEEEEEESN_NSA_INS5_IJNSE_INSF_IiEEEENSE_INSF_IfEEEEEEEEEPS7_SU_SU_NSC_11hip_rocprim7__merge17predicate_wrapperIifNSC_4lessIiEEEEEE10hipError_tPvRmT0_T1_T2_T3_T4_T5_mmT6_P12ihipStream_tbEUlT_E0_NS1_11comp_targetILNS1_3genE8ELNS1_11target_archE1030ELNS1_3gpuE2ELNS1_3repE0EEENS1_30default_config_static_selectorELNS0_4arch9wavefront6targetE0EEEvS15_: ; @_ZN7rocprim17ROCPRIM_400000_NS6detail17trampoline_kernelINS0_14default_configENS1_21merge_config_selectorINS0_5tupleIJifEEENS0_10empty_typeEEEZNS1_10merge_implIS3_NS0_12zip_iteratorINS5_IJN6thrust23THRUST_200600_302600_NS6detail15normal_iteratorINSC_10device_ptrIKiEEEENSE_INSF_IKfEEEEEEEEESN_NSA_INS5_IJNSE_INSF_IiEEEENSE_INSF_IfEEEEEEEEEPS7_SU_SU_NSC_11hip_rocprim7__merge17predicate_wrapperIifNSC_4lessIiEEEEEE10hipError_tPvRmT0_T1_T2_T3_T4_T5_mmT6_P12ihipStream_tbEUlT_E0_NS1_11comp_targetILNS1_3genE8ELNS1_11target_archE1030ELNS1_3gpuE2ELNS1_3repE0EEENS1_30default_config_static_selectorELNS0_4arch9wavefront6targetE0EEEvS15_
; %bb.0:
	s_clause 0x2
	s_load_dwordx4 s[0:3], s[4:5], 0x58
	s_load_dwordx8 s[8:15], s[4:5], 0x8
	s_load_dwordx4 s[16:19], s[4:5], 0x28
	s_lshl_b32 s20, s6, 12
	s_mov_b32 s25, 0
	v_mov_b32_e32 v1, 0
	s_mov_b32 s27, s25
	s_waitcnt lgkmcnt(0)
	s_add_i32 s22, s2, s0
	s_add_i32 s0, s22, 0xfff
	s_lshr_b32 s0, s0, 12
	s_min_u32 s1, s6, s0
	s_lshl_b32 s1, s1, 2
	s_load_dword s24, s[8:9], s1 offset:0x0
	s_add_i32 s1, s6, 1
	s_min_u32 s0, s1, s0
	s_lshl_b32 s0, s0, 2
	s_load_dword s21, s[8:9], s0 offset:0x0
	s_add_i32 s0, s20, 0x1000
	s_min_u32 s23, s22, s0
	s_waitcnt lgkmcnt(0)
	s_lshl_b64 s[2:3], s[24:25], 2
	s_sub_i32 s26, s20, s24
	s_add_u32 s0, s10, s2
	s_addc_u32 s1, s11, s3
	s_add_u32 s2, s12, s2
	s_addc_u32 s3, s13, s3
	s_lshl_b64 s[8:9], s[26:27], 2
	s_mov_b32 s13, exec_lo
	s_add_u32 s6, s14, s8
	s_addc_u32 s7, s15, s9
	s_add_u32 s8, s16, s8
	s_addc_u32 s9, s17, s9
	s_add_i32 s10, s26, s21
	s_sub_i32 s15, s21, s24
	s_sub_i32 s12, s23, s10
	s_add_u32 s10, s12, s15
	s_addc_u32 s11, 0, 0
	v_cmpx_le_u32_e64 s15, v0
	s_xor_b32 s13, exec_lo, s13
	s_cbranch_execz .LBB19_4
; %bb.1:
	s_mov_b32 s14, exec_lo
	v_cmpx_gt_u64_e64 s[10:11], v[0:1]
	s_cbranch_execz .LBB19_3
; %bb.2:
	v_subrev_nc_u32_e32 v1, s15, v0
	v_lshlrev_b32_e32 v3, 3, v0
	v_lshlrev_b32_e32 v2, 2, v1
	s_clause 0x1
	global_load_dword v1, v2, s[6:7]
	global_load_dword v2, v2, s[8:9]
	s_waitcnt vmcnt(0)
	ds_write_b64 v3, v[1:2]
.LBB19_3:
	s_or_b32 exec_lo, exec_lo, s14
.LBB19_4:
	s_or_saveexec_b32 s13, s13
	v_lshlrev_b32_e32 v50, 2, v0
	v_lshlrev_b32_e32 v51, 3, v0
	s_xor_b32 exec_lo, exec_lo, s13
	s_cbranch_execz .LBB19_6
; %bb.5:
	s_clause 0x1
	global_load_dword v1, v50, s[0:1]
	global_load_dword v2, v50, s[2:3]
	s_waitcnt vmcnt(0)
	ds_write_b64 v51, v[1:2]
.LBB19_6:
	s_or_b32 exec_lo, exec_lo, s13
	v_or_b32_e32 v1, 0x100, v0
	v_mov_b32_e32 v2, 0
	s_mov_b32 s13, exec_lo
	v_cmpx_le_u32_e64 s15, v1
	s_xor_b32 s13, exec_lo, s13
	s_cbranch_execz .LBB19_10
; %bb.7:
	s_mov_b32 s14, exec_lo
	v_cmpx_gt_u64_e64 s[10:11], v[1:2]
	s_cbranch_execz .LBB19_9
; %bb.8:
	v_sub_co_u32 v2, s16, v0, s15
	v_sub_co_ci_u32_e64 v3, null, 0, 0, s16
	v_lshlrev_b64 v[2:3], 2, v[2:3]
	v_add_co_u32 v4, vcc_lo, s6, v2
	v_add_co_ci_u32_e64 v5, null, s7, v3, vcc_lo
	v_add_co_u32 v2, vcc_lo, s8, v2
	v_add_co_ci_u32_e64 v3, null, s9, v3, vcc_lo
	global_load_dword v4, v[4:5], off offset:1024
	global_load_dword v5, v[2:3], off offset:1024
	s_waitcnt vmcnt(0)
	ds_write_b64 v51, v[4:5] offset:2048
.LBB19_9:
	s_or_b32 exec_lo, exec_lo, s14
.LBB19_10:
	s_andn2_saveexec_b32 s13, s13
	s_cbranch_execz .LBB19_12
; %bb.11:
	s_clause 0x1
	global_load_dword v2, v50, s[0:1] offset:1024
	global_load_dword v3, v50, s[2:3] offset:1024
	s_waitcnt vmcnt(0)
	ds_write_b64 v51, v[2:3] offset:2048
.LBB19_12:
	s_or_b32 exec_lo, exec_lo, s13
	v_or_b32_e32 v2, 0x200, v0
	v_mov_b32_e32 v3, 0
	s_mov_b32 s13, exec_lo
	v_cmpx_le_u32_e64 s15, v2
	s_xor_b32 s13, exec_lo, s13
	s_cbranch_execz .LBB19_16
; %bb.13:
	s_mov_b32 s14, exec_lo
	v_cmpx_gt_u64_e64 s[10:11], v[2:3]
	s_cbranch_execz .LBB19_15
; %bb.14:
	v_subrev_nc_u32_e32 v3, s15, v2
	v_lshlrev_b32_e32 v4, 2, v3
	s_clause 0x1
	global_load_dword v3, v4, s[6:7]
	global_load_dword v4, v4, s[8:9]
	s_waitcnt vmcnt(0)
	ds_write_b64 v51, v[3:4] offset:4096
.LBB19_15:
	s_or_b32 exec_lo, exec_lo, s14
.LBB19_16:
	s_andn2_saveexec_b32 s13, s13
	s_cbranch_execz .LBB19_18
; %bb.17:
	v_lshlrev_b32_e32 v4, 2, v2
	s_clause 0x1
	global_load_dword v3, v4, s[0:1]
	global_load_dword v4, v4, s[2:3]
	s_waitcnt vmcnt(0)
	ds_write_b64 v51, v[3:4] offset:4096
.LBB19_18:
	s_or_b32 exec_lo, exec_lo, s13
	v_or_b32_e32 v3, 0x300, v0
	v_mov_b32_e32 v4, 0
	s_mov_b32 s13, exec_lo
	v_cmpx_le_u32_e64 s15, v3
	s_xor_b32 s13, exec_lo, s13
	s_cbranch_execz .LBB19_22
; %bb.19:
	s_mov_b32 s14, exec_lo
	v_cmpx_gt_u64_e64 s[10:11], v[3:4]
	s_cbranch_execz .LBB19_21
; %bb.20:
	v_subrev_nc_u32_e32 v4, s15, v3
	v_lshlrev_b32_e32 v5, 2, v4
	s_clause 0x1
	global_load_dword v4, v5, s[6:7]
	global_load_dword v5, v5, s[8:9]
	s_waitcnt vmcnt(0)
	ds_write_b64 v51, v[4:5] offset:6144
.LBB19_21:
	s_or_b32 exec_lo, exec_lo, s14
.LBB19_22:
	s_andn2_saveexec_b32 s13, s13
	s_cbranch_execz .LBB19_24
; %bb.23:
	v_lshlrev_b32_e32 v5, 2, v3
	s_clause 0x1
	global_load_dword v4, v5, s[0:1]
	global_load_dword v5, v5, s[2:3]
	s_waitcnt vmcnt(0)
	ds_write_b64 v51, v[4:5] offset:6144
.LBB19_24:
	;; [unrolled: 32-line block ×13, first 2 shown]
	s_or_b32 exec_lo, exec_lo, s13
	v_or_b32_e32 v15, 0xf00, v0
	v_mov_b32_e32 v16, 0
	s_mov_b32 s13, exec_lo
	v_cmpx_le_u32_e64 s15, v15
	s_xor_b32 s13, exec_lo, s13
	s_cbranch_execz .LBB19_94
; %bb.91:
	v_cmp_gt_u64_e32 vcc_lo, s[10:11], v[15:16]
	s_and_saveexec_b32 s10, vcc_lo
	s_cbranch_execz .LBB19_93
; %bb.92:
	v_subrev_nc_u32_e32 v16, s15, v15
	v_lshlrev_b32_e32 v17, 2, v16
	s_clause 0x1
	global_load_dword v16, v17, s[6:7]
	global_load_dword v17, v17, s[8:9]
	s_waitcnt vmcnt(0)
	ds_write_b64 v51, v[16:17] offset:30720
.LBB19_93:
	s_or_b32 exec_lo, exec_lo, s10
.LBB19_94:
	s_or_saveexec_b32 s6, s13
	s_load_dwordx2 s[16:17], s[4:5], 0x38
	s_xor_b32 exec_lo, exec_lo, s6
	s_cbranch_execz .LBB19_96
; %bb.95:
	v_lshlrev_b32_e32 v17, 2, v15
	s_clause 0x1
	global_load_dword v16, v17, s[0:1]
	global_load_dword v17, v17, s[2:3]
	s_waitcnt vmcnt(0)
	ds_write_b64 v51, v[16:17] offset:30720
.LBB19_96:
	s_or_b32 exec_lo, exec_lo, s6
	v_lshlrev_b32_e32 v16, 4, v0
	s_mov_b32 s0, exec_lo
	s_waitcnt lgkmcnt(0)
	s_barrier
	buffer_gl0_inv
	v_sub_nc_u32_e64 v48, v16, s12 clamp
	v_min_u32_e32 v17, s15, v16
	v_cmpx_lt_u32_e64 v48, v17
	s_cbranch_execz .LBB19_100
; %bb.97:
	v_lshlrev_b32_e32 v18, 3, v16
	s_mov_b32 s1, 0
	v_lshl_add_u32 v18, s15, 3, v18
	.p2align	6
.LBB19_98:                              ; =>This Inner Loop Header: Depth=1
	v_add_nc_u32_e32 v19, v17, v48
	v_lshrrev_b32_e32 v19, 1, v19
	v_not_b32_e32 v20, v19
	v_lshlrev_b32_e32 v21, 3, v19
	v_add_nc_u32_e32 v22, 1, v19
	v_lshl_add_u32 v20, v20, 3, v18
	ds_read_b32 v21, v21
	ds_read_b32 v20, v20
	s_waitcnt lgkmcnt(0)
	v_cmp_lt_i32_e32 vcc_lo, v20, v21
	v_cndmask_b32_e32 v17, v17, v19, vcc_lo
	v_cndmask_b32_e32 v48, v22, v48, vcc_lo
	v_cmp_ge_u32_e32 vcc_lo, v48, v17
	s_or_b32 s1, vcc_lo, s1
	s_andn2_b32 exec_lo, exec_lo, s1
	s_cbranch_execnz .LBB19_98
; %bb.99:
	s_or_b32 exec_lo, exec_lo, s1
.LBB19_100:
	s_or_b32 exec_lo, exec_lo, s0
	v_add_nc_u32_e32 v16, s15, v16
	s_add_i32 s23, s12, s15
	v_cmp_ge_u32_e32 vcc_lo, s15, v48
	v_mov_b32_e32 v34, 0
	v_mov_b32_e32 v35, 0
	v_sub_nc_u32_e32 v49, v16, v48
	v_mov_b32_e32 v32, 0
	v_mov_b32_e32 v33, 0
	;; [unrolled: 1-line block ×4, first 2 shown]
	v_cmp_ge_u32_e64 s0, s23, v49
	v_mov_b32_e32 v22, 0
	v_mov_b32_e32 v23, 0
	;; [unrolled: 1-line block ×26, first 2 shown]
	s_or_b32 s0, vcc_lo, s0
	s_and_saveexec_b32 s21, s0
	s_cbranch_execz .LBB19_106
; %bb.101:
	v_cmp_gt_u32_e32 vcc_lo, s15, v48
	v_mov_b32_e32 v17, 0
	v_mov_b32_e32 v18, 0
	;; [unrolled: 1-line block ×3, first 2 shown]
	s_and_saveexec_b32 s0, vcc_lo
; %bb.102:
	v_lshlrev_b32_e32 v16, 3, v48
	ds_read_b64 v[16:17], v16
; %bb.103:
	s_or_b32 exec_lo, exec_lo, s0
	v_cmp_le_u32_e64 s0, s23, v49
	v_mov_b32_e32 v19, 0
	s_mov_b32 s2, exec_lo
	v_cmpx_gt_u32_e64 s23, v49
; %bb.104:
	v_lshlrev_b32_e32 v18, 3, v49
	ds_read_b64 v[18:19], v18
; %bb.105:
	s_or_b32 exec_lo, exec_lo, s2
	s_waitcnt lgkmcnt(0)
	v_cmp_ge_i32_e64 s1, v18, v16
	v_mov_b32_e32 v35, s15
	s_and_b32 s1, vcc_lo, s1
	s_or_b32 vcc_lo, s0, s1
	v_cndmask_b32_e32 v20, v49, v48, vcc_lo
	v_cndmask_b32_e32 v21, s23, v35, vcc_lo
	v_add_nc_u32_e32 v22, 1, v20
	v_add_nc_u32_e32 v20, -1, v21
	v_cndmask_b32_e32 v24, v48, v22, vcc_lo
	v_min_u32_e32 v20, v22, v20
	v_cndmask_b32_e32 v25, v22, v49, vcc_lo
	v_cmp_gt_u32_e64 s0, s15, v24
	v_lshlrev_b32_e32 v20, 3, v20
	v_cmp_le_u32_e64 s2, s23, v25
	ds_read_b64 v[20:21], v20
	s_waitcnt lgkmcnt(0)
	v_cndmask_b32_e32 v26, v20, v18, vcc_lo
	v_cndmask_b32_e32 v20, v16, v20, vcc_lo
	v_cmp_ge_i32_e64 s1, v26, v20
	s_and_b32 s0, s0, s1
	s_or_b32 s0, s2, s0
	v_cndmask_b32_e64 v22, v25, v24, s0
	v_cndmask_b32_e64 v23, s23, v35, s0
	v_cndmask_b32_e64 v30, v26, v20, s0
	v_add_nc_u32_e32 v27, 1, v22
	v_add_nc_u32_e32 v22, -1, v23
	v_cndmask_b32_e64 v28, v24, v27, s0
	v_min_u32_e32 v22, v27, v22
	v_cndmask_b32_e64 v27, v27, v25, s0
	v_cmp_gt_u32_e64 s1, s15, v28
	v_lshlrev_b32_e32 v22, 3, v22
	v_cmp_le_u32_e64 s3, s23, v27
	ds_read_b64 v[22:23], v22
	s_waitcnt lgkmcnt(0)
	v_cndmask_b32_e64 v42, v22, v26, s0
	v_cndmask_b32_e64 v22, v20, v22, s0
	v_cmp_ge_i32_e64 s2, v42, v22
	s_and_b32 s1, s1, s2
	s_or_b32 s1, s3, s1
	v_cndmask_b32_e64 v24, v27, v28, s1
	v_cndmask_b32_e64 v25, s23, v35, s1
	v_add_nc_u32_e32 v29, 1, v24
	v_add_nc_u32_e32 v24, -1, v25
	v_cndmask_b32_e64 v28, v28, v29, s1
	v_min_u32_e32 v24, v29, v24
	v_cmp_gt_u32_e64 s2, s15, v28
	v_lshlrev_b32_e32 v24, 3, v24
	ds_read_b64 v[24:25], v24
	s_waitcnt lgkmcnt(0)
	v_cndmask_b32_e64 v45, v24, v42, s1
	v_cndmask_b32_e64 v58, v22, v24, s1
	;; [unrolled: 1-line block ×3, first 2 shown]
	v_cmp_ge_i32_e64 s3, v45, v58
	v_cmp_le_u32_e64 s4, s23, v24
	s_and_b32 s2, s2, s3
	s_or_b32 s2, s4, s2
	v_cndmask_b32_e64 v27, v24, v28, s2
	v_cndmask_b32_e64 v29, s23, v35, s2
	;; [unrolled: 1-line block ×3, first 2 shown]
	v_add_nc_u32_e32 v27, 1, v27
	v_add_nc_u32_e32 v29, -1, v29
	v_cndmask_b32_e64 v28, v28, v27, s2
	v_min_u32_e32 v29, v27, v29
	v_cndmask_b32_e64 v24, v27, v24, s2
	v_cmp_gt_u32_e64 s3, s15, v28
	v_lshlrev_b32_e32 v29, 3, v29
	v_cmp_le_u32_e64 s5, s23, v24
	ds_read_b64 v[31:32], v29
	s_waitcnt lgkmcnt(0)
	v_cndmask_b32_e64 v59, v31, v45, s2
	v_cndmask_b32_e64 v60, v58, v31, s2
	v_cmp_ge_i32_e64 s4, v59, v60
	s_and_b32 s3, s3, s4
	s_or_b32 s3, s5, s3
	v_cndmask_b32_e64 v27, v24, v28, s3
	v_cndmask_b32_e64 v29, s23, v35, s3
	v_add_nc_u32_e32 v27, 1, v27
	v_add_nc_u32_e32 v29, -1, v29
	v_cndmask_b32_e64 v28, v28, v27, s3
	v_min_u32_e32 v29, v27, v29
	v_cndmask_b32_e64 v24, v27, v24, s3
	v_cmp_gt_u32_e64 s4, s15, v28
	v_lshlrev_b32_e32 v29, 3, v29
	v_cmp_le_u32_e64 s6, s23, v24
	ds_read_b64 v[33:34], v29
	s_waitcnt lgkmcnt(0)
	v_cndmask_b32_e64 v61, v33, v59, s3
	v_cndmask_b32_e64 v33, v60, v33, s3
	v_cmp_ge_i32_e64 s5, v61, v33
	s_and_b32 s4, s4, s5
	s_or_b32 s4, s6, s4
	v_cndmask_b32_e64 v27, v24, v28, s4
	v_cndmask_b32_e64 v29, s23, v35, s4
	;; [unrolled: 17-line block ×5, first 2 shown]
	v_add_nc_u32_e32 v27, 1, v27
	v_add_nc_u32_e32 v29, -1, v29
	v_cndmask_b32_e64 v28, v28, v27, s7
	v_min_u32_e32 v29, v27, v29
	v_cndmask_b32_e64 v24, v27, v24, s7
	v_cmp_gt_u32_e64 s8, s15, v28
	v_lshlrev_b32_e32 v29, 3, v29
	v_cmp_le_u32_e64 s10, s23, v24
	ds_read_b64 v[43:44], v29
	s_waitcnt lgkmcnt(0)
	v_cndmask_b32_e64 v67, v43, v66, s7
	v_cndmask_b32_e64 v68, v40, v43, s7
	;; [unrolled: 1-line block ×3, first 2 shown]
	v_cmp_ge_i32_e64 s9, v67, v68
	s_and_b32 s8, s8, s9
	s_or_b32 s8, s10, s8
	v_cndmask_b32_e64 v27, v24, v28, s8
	v_cndmask_b32_e64 v29, s23, v35, s8
	v_add_nc_u32_e32 v27, 1, v27
	v_add_nc_u32_e32 v29, -1, v29
	v_cndmask_b32_e64 v28, v28, v27, s8
	v_min_u32_e32 v29, v27, v29
	v_cndmask_b32_e64 v24, v27, v24, s8
	v_cmp_gt_u32_e64 s9, s15, v28
	v_lshlrev_b32_e32 v29, 3, v29
	v_cmp_le_u32_e64 s11, s23, v24
	ds_read_b64 v[46:47], v29
	s_waitcnt lgkmcnt(0)
	v_cndmask_b32_e64 v69, v46, v67, s8
	v_cndmask_b32_e64 v70, v68, v46, s8
	v_cndmask_b32_e64 v46, v64, v65, s6
	v_cmp_ge_i32_e64 s10, v69, v70
	s_and_b32 s9, s9, s10
	s_or_b32 s9, s11, s9
	v_cndmask_b32_e64 v27, v24, v28, s9
	v_cndmask_b32_e64 v29, s23, v35, s9
	v_add_nc_u32_e32 v27, 1, v27
	v_add_nc_u32_e32 v29, -1, v29
	v_cndmask_b32_e64 v28, v28, v27, s9
	v_min_u32_e32 v29, v27, v29
	v_cndmask_b32_e64 v24, v27, v24, s9
	v_cmp_gt_u32_e64 s10, s15, v28
	v_lshlrev_b32_e32 v29, 3, v29
	v_cmp_le_u32_e64 s12, s23, v24
	ds_read_b64 v[48:49], v29
	s_waitcnt lgkmcnt(0)
	v_cndmask_b32_e64 v71, v48, v69, s9
	v_cndmask_b32_e64 v48, v70, v48, s9
	v_cmp_ge_i32_e64 s11, v71, v48
	s_and_b32 s10, s10, s11
	s_or_b32 s10, s12, s10
	v_cndmask_b32_e64 v27, v24, v28, s10
	v_cndmask_b32_e64 v29, s23, v35, s10
	v_add_nc_u32_e32 v27, 1, v27
	v_add_nc_u32_e32 v29, -1, v29
	v_cndmask_b32_e64 v28, v28, v27, s10
	v_min_u32_e32 v29, v27, v29
	v_cndmask_b32_e64 v24, v27, v24, s10
	v_cmp_gt_u32_e64 s11, s15, v28
	v_lshlrev_b32_e32 v29, 3, v29
	v_cmp_le_u32_e64 s13, s23, v24
	ds_read_b64 v[52:53], v29
	s_waitcnt lgkmcnt(0)
	v_cndmask_b32_e64 v72, v52, v71, s10
	v_cndmask_b32_e64 v52, v48, v52, s10
	v_cmp_ge_i32_e64 s12, v72, v52
	s_and_b32 s11, s11, s12
	s_or_b32 s11, s13, s11
	v_cndmask_b32_e64 v27, v24, v28, s11
	v_cndmask_b32_e64 v29, s23, v35, s11
	v_add_nc_u32_e32 v27, 1, v27
	v_add_nc_u32_e32 v29, -1, v29
	v_cndmask_b32_e64 v36, v28, v27, s11
	v_min_u32_e32 v29, v27, v29
	v_cndmask_b32_e64 v38, v27, v24, s11
	v_cndmask_b32_e32 v28, v18, v16, vcc_lo
	v_cmp_gt_u32_e64 s12, s15, v36
	v_lshlrev_b32_e32 v29, 3, v29
	v_cmp_le_u32_e64 s14, s23, v38
	ds_read_b64 v[54:55], v29
	v_cndmask_b32_e32 v29, v19, v17, vcc_lo
	s_waitcnt lgkmcnt(0)
	v_cndmask_b32_e64 v73, v54, v72, s11
	v_cndmask_b32_e64 v54, v52, v54, s11
	v_cmp_ge_i32_e64 s13, v73, v54
	s_and_b32 s12, s12, s13
	s_or_b32 s12, s14, s12
	v_cndmask_b32_e64 v24, v38, v36, s12
	v_cndmask_b32_e64 v27, s23, v35, s12
	v_add_nc_u32_e32 v43, 1, v24
	v_add_nc_u32_e32 v24, -1, v27
	v_cndmask_b32_e64 v58, v36, v43, s12
	v_min_u32_e32 v24, v43, v24
	v_cndmask_b32_e64 v75, v43, v38, s12
	v_cndmask_b32_e64 v36, v59, v60, s3
	;; [unrolled: 1-line block ×3, first 2 shown]
	v_lshlrev_b32_e32 v24, 3, v24
	ds_read_b64 v[56:57], v24
	v_cndmask_b32_e32 v24, v21, v19, vcc_lo
	v_cndmask_b32_e32 v21, v17, v21, vcc_lo
	v_cmp_gt_u32_e32 vcc_lo, s15, v58
	v_cndmask_b32_e64 v27, v23, v24, s0
	v_cndmask_b32_e64 v23, v21, v23, s0
	;; [unrolled: 1-line block ×8, first 2 shown]
	v_cmp_le_u32_e64 s1, s23, v75
	v_cndmask_b32_e64 v27, v16, v17, s2
	v_cndmask_b32_e64 v16, v32, v16, s2
	;; [unrolled: 1-line block ×3, first 2 shown]
	s_waitcnt lgkmcnt(0)
	v_cndmask_b32_e64 v74, v56, v73, s12
	v_cndmask_b32_e64 v56, v54, v56, s12
	;; [unrolled: 1-line block ×4, first 2 shown]
	v_cmp_ge_i32_e64 s0, v74, v56
	v_cndmask_b32_e64 v20, v37, v18, s4
	v_cndmask_b32_e64 v21, v19, v37, s4
	;; [unrolled: 1-line block ×3, first 2 shown]
	s_and_b32 s0, vcc_lo, s0
	v_cndmask_b32_e64 v43, v18, v19, s4
	s_or_b32 vcc_lo, s1, s0
	v_cndmask_b32_e64 v16, v39, v20, s5
	v_cndmask_b32_e32 v22, v75, v58, vcc_lo
	v_cndmask_b32_e32 v23, s23, v35, vcc_lo
	v_cndmask_b32_e64 v17, v21, v39, s5
	v_cndmask_b32_e64 v39, v20, v21, s5
	v_add_nc_u32_e32 v34, 1, v22
	v_add_nc_u32_e32 v22, -1, v23
	v_cndmask_b32_e64 v23, v41, v16, s6
	v_cndmask_b32_e64 v35, v17, v41, s6
	v_min_u32_e32 v18, v34, v22
	v_cndmask_b32_e64 v19, v44, v23, s7
	v_cndmask_b32_e64 v22, v35, v44, s7
	;; [unrolled: 1-line block ×4, first 2 shown]
	v_lshlrev_b32_e32 v18, 3, v18
	v_cndmask_b32_e64 v20, v47, v19, s8
	v_cndmask_b32_e64 v21, v22, v47, s8
	;; [unrolled: 1-line block ×4, first 2 shown]
	ds_read_b64 v[32:33], v18
	v_cndmask_b32_e64 v18, v49, v20, s9
	v_cndmask_b32_e64 v49, v21, v49, s9
	;; [unrolled: 1-line block ×8, first 2 shown]
	v_cndmask_b32_e32 v49, v58, v34, vcc_lo
	v_cndmask_b32_e32 v34, v34, v75, vcc_lo
	v_cndmask_b32_e64 v35, v55, v19, s11
	v_cndmask_b32_e64 v48, v23, v55, s11
	v_cndmask_b32_e64 v23, v19, v23, s11
	v_cmp_gt_u32_e64 s0, s15, v49
	v_cmp_le_u32_e64 s2, s23, v34
	v_cndmask_b32_e64 v18, v73, v54, s12
	v_cndmask_b32_e64 v19, v35, v48, s12
	;; [unrolled: 1-line block ×4, first 2 shown]
	s_waitcnt lgkmcnt(0)
	v_cndmask_b32_e32 v52, v32, v74, vcc_lo
	v_cndmask_b32_e32 v53, v56, v32, vcc_lo
	;; [unrolled: 1-line block ×6, first 2 shown]
	v_cmp_ge_i32_e64 s1, v52, v53
	v_cndmask_b32_e64 v16, v69, v70, s9
	s_and_b32 s0, s0, s1
	s_or_b32 vcc_lo, s2, s0
	v_cndmask_b32_e32 v34, v52, v53, vcc_lo
	v_cndmask_b32_e32 v35, v49, v54, vcc_lo
.LBB19_106:
	s_or_b32 exec_lo, exec_lo, s21
	v_and_b32_e32 v48, 0x3f8, v50
	s_mov_b32 s21, 0
	s_sub_i32 s4, s22, s20
	s_lshl_b64 s[2:3], s[20:21], 2
	v_lshl_add_u32 v48, v0, 7, v48
	s_add_u32 s0, s18, s2
	s_addc_u32 s1, s19, s3
	s_barrier
	buffer_gl0_inv
	ds_write2_b64 v48, v[28:29], v[30:31] offset1:1
	ds_write2_b64 v48, v[24:25], v[26:27] offset0:2 offset1:3
	ds_write2_b64 v48, v[36:37], v[42:43] offset0:4 offset1:5
	;; [unrolled: 1-line block ×4, first 2 shown]
	v_lshrrev_b32_e32 v42, 2, v1
	v_lshrrev_b32_e32 v41, 2, v2
	;; [unrolled: 1-line block ×15, first 2 shown]
	s_add_u32 s2, s16, s2
	s_addc_u32 s3, s17, s3
	s_cmpk_gt_u32 s4, 0xfff
	ds_write2_b64 v48, v[16:17], v[20:21] offset0:10 offset1:11
	ds_write2_b64 v48, v[22:23], v[18:19] offset0:12 offset1:13
	;; [unrolled: 1-line block ×3, first 2 shown]
	s_waitcnt lgkmcnt(0)
	s_cbranch_scc0 .LBB19_108
; %bb.107:
	v_lshrrev_b32_e32 v16, 2, v0
	v_and_b32_e32 v17, 0x78, v42
	v_and_b32_e32 v18, 0xf8, v41
	;; [unrolled: 1-line block ×5, first 2 shown]
	v_add_nc_u32_e32 v17, v17, v51
	v_and_b32_e32 v35, 0x1f8, v38
	v_add_nc_u32_e32 v22, v18, v51
	v_and_b32_e32 v43, 0x1f8, v37
	v_add_nc_u32_e32 v16, v16, v51
	v_add_nc_u32_e32 v32, v19, v51
	v_and_b32_e32 v44, 0x1f8, v36
	s_barrier
	buffer_gl0_inv
	ds_read_b64 v[18:19], v16
	ds_read_b64 v[20:21], v17 offset:2048
	ds_read_b64 v[22:23], v22 offset:4096
	;; [unrolled: 1-line block ×3, first 2 shown]
	v_add_nc_u32_e32 v16, v34, v51
	v_and_b32_e32 v52, 0x3f8, v30
	v_add_nc_u32_e32 v17, v35, v51
	v_and_b32_e32 v49, 0x3f8, v31
	v_and_b32_e32 v53, 0x3f8, v29
	v_add_nc_u32_e32 v45, v43, v51
	v_add_nc_u32_e32 v47, v44, v51
	ds_read_b64 v[34:35], v16 offset:8192
	ds_read_b64 v[43:44], v17 offset:10240
	;; [unrolled: 1-line block ×4, first 2 shown]
	v_add_nc_u32_e32 v17, v52, v51
	v_and_b32_e32 v52, 0x3f8, v28
	v_add_nc_u32_e32 v16, v49, v51
	v_add_nc_u32_e32 v49, v53, v51
	v_and_b32_e32 v53, 0x3f8, v27
	v_and_b32_e32 v54, 0x3f8, v26
	;; [unrolled: 1-line block ×4, first 2 shown]
	v_add_nc_u32_e32 v58, v52, v51
	v_add_nc_u32_e32 v60, v53, v51
	;; [unrolled: 1-line block ×5, first 2 shown]
	ds_read_b64 v[52:53], v16 offset:16384
	ds_read_b64 v[54:55], v17 offset:18432
	;; [unrolled: 1-line block ×8, first 2 shown]
	v_add_co_u32 v49, s5, s0, v50
	v_add_co_ci_u32_e64 v70, null, s1, 0, s5
	v_add_co_u32 v71, s5, s2, v50
	s_waitcnt lgkmcnt(15)
	global_store_dword v50, v18, s[0:1]
	global_store_dword v50, v19, s[2:3]
	s_waitcnt lgkmcnt(14)
	global_store_dword v50, v20, s[0:1] offset:1024
	global_store_dword v50, v21, s[2:3] offset:1024
	v_add_co_u32 v18, vcc_lo, 0x800, v49
	v_add_co_ci_u32_e64 v72, null, s3, 0, s5
	v_add_co_ci_u32_e64 v19, null, 0, v70, vcc_lo
	v_add_co_u32 v20, vcc_lo, v49, 0x1000
	v_add_co_ci_u32_e64 v21, null, 0, v70, vcc_lo
	v_add_co_u32 v66, vcc_lo, v71, 0x1000
	v_add_co_ci_u32_e64 v67, null, 0, v72, vcc_lo
	v_add_co_u32 v68, vcc_lo, 0x800, v71
	v_add_co_ci_u32_e64 v69, null, 0, v72, vcc_lo
	s_waitcnt lgkmcnt(13)
	global_store_dword v[20:21], v22, off offset:-2048
	global_store_dword v[66:67], v23, off offset:-2048
	s_waitcnt lgkmcnt(12)
	global_store_dword v[18:19], v32, off offset:1024
	global_store_dword v[68:69], v33, off offset:1024
	v_add_co_u32 v18, vcc_lo, 0x1000, v49
	v_add_co_ci_u32_e64 v19, null, 0, v70, vcc_lo
	s_waitcnt lgkmcnt(11)
	global_store_dword v[20:21], v34, off
	v_add_co_u32 v20, vcc_lo, 0x1000, v71
	v_add_co_ci_u32_e64 v21, null, 0, v72, vcc_lo
	global_store_dword v[66:67], v35, off
	s_waitcnt lgkmcnt(10)
	global_store_dword v[18:19], v43, off offset:1024
	v_add_co_u32 v18, vcc_lo, 0x1800, v49
	v_add_co_ci_u32_e64 v19, null, 0, v70, vcc_lo
	v_add_co_u32 v22, vcc_lo, v49, 0x2000
	v_add_co_ci_u32_e64 v23, null, 0, v70, vcc_lo
	;; [unrolled: 2-line block ×4, first 2 shown]
	global_store_dword v[20:21], v44, off offset:1024
	s_waitcnt lgkmcnt(9)
	global_store_dword v[22:23], v45, off offset:-2048
	global_store_dword v[32:33], v46, off offset:-2048
	s_waitcnt lgkmcnt(8)
	global_store_dword v[18:19], v47, off offset:1024
	global_store_dword v[34:35], v48, off offset:1024
	v_add_co_u32 v18, vcc_lo, 0x2000, v49
	v_add_co_ci_u32_e64 v19, null, 0, v70, vcc_lo
	v_add_co_u32 v20, vcc_lo, 0x2000, v71
	s_waitcnt lgkmcnt(7)
	global_store_dword v[22:23], v52, off
	v_add_co_ci_u32_e64 v21, null, 0, v72, vcc_lo
	global_store_dword v[32:33], v53, off
	s_waitcnt lgkmcnt(6)
	global_store_dword v[18:19], v54, off offset:1024
	v_add_co_u32 v18, vcc_lo, 0x2800, v49
	v_add_co_ci_u32_e64 v19, null, 0, v70, vcc_lo
	v_add_co_u32 v22, vcc_lo, v49, 0x3000
	v_add_co_ci_u32_e64 v23, null, 0, v70, vcc_lo
	;; [unrolled: 2-line block ×4, first 2 shown]
	global_store_dword v[20:21], v55, off offset:1024
	s_waitcnt lgkmcnt(5)
	global_store_dword v[22:23], v56, off offset:-2048
	global_store_dword v[32:33], v57, off offset:-2048
	s_waitcnt lgkmcnt(4)
	global_store_dword v[18:19], v58, off offset:1024
	global_store_dword v[34:35], v59, off offset:1024
	v_add_co_u32 v18, vcc_lo, 0x3000, v49
	v_add_co_ci_u32_e64 v19, null, 0, v70, vcc_lo
	v_add_co_u32 v20, vcc_lo, 0x3000, v71
	s_waitcnt lgkmcnt(3)
	global_store_dword v[22:23], v60, off
	v_add_co_ci_u32_e64 v21, null, 0, v72, vcc_lo
	v_add_co_u32 v22, vcc_lo, 0x3800, v49
	global_store_dword v[32:33], v61, off
	v_add_co_ci_u32_e64 v23, null, 0, v70, vcc_lo
	v_add_co_u32 v32, vcc_lo, 0x3800, v71
	v_add_co_ci_u32_e64 v33, null, 0, v72, vcc_lo
	s_waitcnt lgkmcnt(2)
	global_store_dword v[18:19], v62, off offset:1024
	global_store_dword v[20:21], v63, off offset:1024
	s_waitcnt lgkmcnt(1)
	global_store_dword v[22:23], v64, off
	s_mov_b32 s21, -1
	global_store_dword v[32:33], v65, off
	s_cbranch_execz .LBB19_109
	s_branch .LBB19_126
.LBB19_108:
                                        ; implicit-def: $vgpr17
.LBB19_109:
	s_waitcnt lgkmcnt(0)
	v_and_b32_e32 v16, 0x78, v42
	v_and_b32_e32 v17, 0xf8, v41
	;; [unrolled: 1-line block ×5, first 2 shown]
	v_add_nc_u32_e32 v16, v16, v51
	v_add_nc_u32_e32 v17, v17, v51
	v_and_b32_e32 v21, 0x1f8, v37
	v_add_nc_u32_e32 v18, v18, v51
	v_and_b32_e32 v22, 0x1f8, v36
	;; [unrolled: 2-line block ×3, first 2 shown]
	s_barrier
	s_waitcnt_vscnt null, 0x0
	buffer_gl0_inv
	ds_read_b64 v[48:49], v16 offset:2048
	ds_read_b64 v[46:47], v17 offset:4096
	;; [unrolled: 1-line block ×4, first 2 shown]
	v_add_nc_u32_e32 v16, v20, v51
	v_add_nc_u32_e32 v17, v21, v51
	;; [unrolled: 1-line block ×3, first 2 shown]
	v_and_b32_e32 v20, 0x3f8, v30
	v_add_nc_u32_e32 v19, v23, v51
	v_and_b32_e32 v21, 0x3f8, v29
	ds_read_b64 v[40:41], v16 offset:10240
	ds_read_b64 v[38:39], v17 offset:12288
	;; [unrolled: 1-line block ×4, first 2 shown]
	v_and_b32_e32 v18, 0x3f8, v28
	v_and_b32_e32 v19, 0x3f8, v27
	v_add_nc_u32_e32 v16, v20, v51
	v_and_b32_e32 v20, 0x3f8, v26
	v_add_nc_u32_e32 v17, v21, v51
	v_and_b32_e32 v21, 0x3f8, v25
	v_and_b32_e32 v22, 0x3f8, v24
	v_add_nc_u32_e32 v18, v18, v51
	v_add_nc_u32_e32 v19, v19, v51
	;; [unrolled: 1-line block ×5, first 2 shown]
	ds_read_b64 v[34:35], v16 offset:18432
	ds_read_b64 v[30:31], v17 offset:20480
	;; [unrolled: 1-line block ×7, first 2 shown]
	v_add_co_u32 v22, s5, s0, v50
	v_add_co_ci_u32_e64 v23, null, s1, 0, s5
	v_add_co_u32 v20, s5, s2, v50
	v_add_co_ci_u32_e64 v21, null, s3, 0, s5
	s_mov_b32 s5, exec_lo
	v_cmpx_gt_u32_e64 s4, v0
	s_cbranch_execnz .LBB19_129
; %bb.110:
	s_or_b32 exec_lo, exec_lo, s5
	s_mov_b32 s5, exec_lo
	v_cmpx_gt_u32_e64 s4, v1
	s_cbranch_execnz .LBB19_130
.LBB19_111:
	s_or_b32 exec_lo, exec_lo, s5
	s_mov_b32 s5, exec_lo
	v_cmpx_gt_u32_e64 s4, v2
	s_cbranch_execnz .LBB19_131
.LBB19_112:
	s_or_b32 exec_lo, exec_lo, s5
	s_mov_b32 s5, exec_lo
	v_cmpx_gt_u32_e64 s4, v3
	s_cbranch_execnz .LBB19_132
.LBB19_113:
	s_or_b32 exec_lo, exec_lo, s5
	s_mov_b32 s5, exec_lo
	v_cmpx_gt_u32_e64 s4, v4
	s_cbranch_execnz .LBB19_133
.LBB19_114:
	s_or_b32 exec_lo, exec_lo, s5
	s_mov_b32 s5, exec_lo
	v_cmpx_gt_u32_e64 s4, v5
	s_cbranch_execnz .LBB19_134
.LBB19_115:
	s_or_b32 exec_lo, exec_lo, s5
	s_mov_b32 s5, exec_lo
	v_cmpx_gt_u32_e64 s4, v6
	s_cbranch_execnz .LBB19_135
.LBB19_116:
	s_or_b32 exec_lo, exec_lo, s5
	s_mov_b32 s5, exec_lo
	v_cmpx_gt_u32_e64 s4, v7
	s_cbranch_execnz .LBB19_136
.LBB19_117:
	s_or_b32 exec_lo, exec_lo, s5
	s_mov_b32 s5, exec_lo
	v_cmpx_gt_u32_e64 s4, v8
	s_cbranch_execnz .LBB19_137
.LBB19_118:
	s_or_b32 exec_lo, exec_lo, s5
	s_mov_b32 s5, exec_lo
	v_cmpx_gt_u32_e64 s4, v9
	s_cbranch_execnz .LBB19_138
.LBB19_119:
	s_or_b32 exec_lo, exec_lo, s5
	s_mov_b32 s5, exec_lo
	v_cmpx_gt_u32_e64 s4, v10
	s_cbranch_execnz .LBB19_139
.LBB19_120:
	s_or_b32 exec_lo, exec_lo, s5
	s_mov_b32 s5, exec_lo
	v_cmpx_gt_u32_e64 s4, v11
	s_cbranch_execnz .LBB19_140
.LBB19_121:
	s_or_b32 exec_lo, exec_lo, s5
	s_mov_b32 s5, exec_lo
	v_cmpx_gt_u32_e64 s4, v12
	s_cbranch_execnz .LBB19_141
.LBB19_122:
	s_or_b32 exec_lo, exec_lo, s5
	s_mov_b32 s5, exec_lo
	v_cmpx_gt_u32_e64 s4, v13
	s_cbranch_execnz .LBB19_142
.LBB19_123:
	s_or_b32 exec_lo, exec_lo, s5
	s_mov_b32 s5, exec_lo
	v_cmpx_gt_u32_e64 s4, v14
	s_cbranch_execz .LBB19_125
.LBB19_124:
	v_add_co_u32 v0, vcc_lo, 0x3800, v22
	v_add_co_ci_u32_e64 v1, null, 0, v23, vcc_lo
	v_add_co_u32 v2, vcc_lo, 0x3800, v20
	v_add_co_ci_u32_e64 v3, null, 0, v21, vcc_lo
	s_waitcnt lgkmcnt(1)
	global_store_dword v[0:1], v18, off
	global_store_dword v[2:3], v19, off
.LBB19_125:
	s_or_b32 exec_lo, exec_lo, s5
	v_cmp_gt_u32_e64 s21, s4, v15
.LBB19_126:
	s_and_saveexec_b32 s4, s21
	s_cbranch_execnz .LBB19_128
; %bb.127:
	s_endpgm
.LBB19_128:
	v_add_co_u32 v0, s0, s0, v50
	v_add_co_ci_u32_e64 v1, null, s1, 0, s0
	v_add_co_u32 v2, s0, s2, v50
	v_add_co_ci_u32_e64 v3, null, s3, 0, s0
	v_add_co_u32 v0, vcc_lo, 0x3800, v0
	v_add_co_ci_u32_e64 v1, null, 0, v1, vcc_lo
	v_add_co_u32 v2, vcc_lo, 0x3800, v2
	v_add_co_ci_u32_e64 v3, null, 0, v3, vcc_lo
	s_waitcnt lgkmcnt(0)
	global_store_dword v[0:1], v16, off offset:1024
	global_store_dword v[2:3], v17, off offset:1024
	s_endpgm
.LBB19_129:
	v_lshrrev_b32_e32 v51, 2, v0
	v_and_b32_e32 v51, 56, v51
	v_lshl_add_u32 v0, v0, 3, v51
	ds_read_b64 v[51:52], v0
	s_waitcnt lgkmcnt(0)
	global_store_dword v[22:23], v51, off
	global_store_dword v[20:21], v52, off
	s_or_b32 exec_lo, exec_lo, s5
	s_mov_b32 s5, exec_lo
	v_cmpx_gt_u32_e64 s4, v1
	s_cbranch_execz .LBB19_111
.LBB19_130:
	s_waitcnt lgkmcnt(14)
	global_store_dword v[22:23], v48, off offset:1024
	global_store_dword v[20:21], v49, off offset:1024
	s_or_b32 exec_lo, exec_lo, s5
	s_mov_b32 s5, exec_lo
	v_cmpx_gt_u32_e64 s4, v2
	s_cbranch_execz .LBB19_112
.LBB19_131:
	v_add_co_u32 v0, vcc_lo, 0x800, v22
	v_add_co_ci_u32_e64 v1, null, 0, v23, vcc_lo
	s_waitcnt lgkmcnt(14)
	v_add_co_u32 v48, vcc_lo, 0x800, v20
	v_add_co_ci_u32_e64 v49, null, 0, v21, vcc_lo
	s_waitcnt lgkmcnt(13)
	global_store_dword v[0:1], v46, off
	global_store_dword v[48:49], v47, off
	s_or_b32 exec_lo, exec_lo, s5
	s_mov_b32 s5, exec_lo
	v_cmpx_gt_u32_e64 s4, v3
	s_cbranch_execz .LBB19_113
.LBB19_132:
	v_add_co_u32 v0, vcc_lo, 0x800, v22
	v_add_co_ci_u32_e64 v1, null, 0, v23, vcc_lo
	v_add_co_u32 v2, vcc_lo, 0x800, v20
	v_add_co_ci_u32_e64 v3, null, 0, v21, vcc_lo
	s_waitcnt lgkmcnt(12)
	global_store_dword v[0:1], v44, off offset:1024
	global_store_dword v[2:3], v45, off offset:1024
	s_or_b32 exec_lo, exec_lo, s5
	s_mov_b32 s5, exec_lo
	v_cmpx_gt_u32_e64 s4, v4
	s_cbranch_execz .LBB19_114
.LBB19_133:
	v_add_co_u32 v0, vcc_lo, 0x1000, v22
	v_add_co_ci_u32_e64 v1, null, 0, v23, vcc_lo
	v_add_co_u32 v2, vcc_lo, 0x1000, v20
	v_add_co_ci_u32_e64 v3, null, 0, v21, vcc_lo
	s_waitcnt lgkmcnt(11)
	global_store_dword v[0:1], v42, off
	global_store_dword v[2:3], v43, off
	s_or_b32 exec_lo, exec_lo, s5
	s_mov_b32 s5, exec_lo
	v_cmpx_gt_u32_e64 s4, v5
	s_cbranch_execz .LBB19_115
.LBB19_134:
	v_add_co_u32 v0, vcc_lo, 0x1000, v22
	v_add_co_ci_u32_e64 v1, null, 0, v23, vcc_lo
	v_add_co_u32 v2, vcc_lo, 0x1000, v20
	v_add_co_ci_u32_e64 v3, null, 0, v21, vcc_lo
	s_waitcnt lgkmcnt(10)
	global_store_dword v[0:1], v40, off offset:1024
	global_store_dword v[2:3], v41, off offset:1024
	s_or_b32 exec_lo, exec_lo, s5
	s_mov_b32 s5, exec_lo
	v_cmpx_gt_u32_e64 s4, v6
	s_cbranch_execz .LBB19_116
.LBB19_135:
	v_add_co_u32 v0, vcc_lo, 0x1800, v22
	v_add_co_ci_u32_e64 v1, null, 0, v23, vcc_lo
	v_add_co_u32 v2, vcc_lo, 0x1800, v20
	v_add_co_ci_u32_e64 v3, null, 0, v21, vcc_lo
	s_waitcnt lgkmcnt(9)
	global_store_dword v[0:1], v38, off
	global_store_dword v[2:3], v39, off
	s_or_b32 exec_lo, exec_lo, s5
	s_mov_b32 s5, exec_lo
	v_cmpx_gt_u32_e64 s4, v7
	s_cbranch_execz .LBB19_117
.LBB19_136:
	v_add_co_u32 v0, vcc_lo, 0x1800, v22
	v_add_co_ci_u32_e64 v1, null, 0, v23, vcc_lo
	v_add_co_u32 v2, vcc_lo, 0x1800, v20
	v_add_co_ci_u32_e64 v3, null, 0, v21, vcc_lo
	s_waitcnt lgkmcnt(8)
	global_store_dword v[0:1], v36, off offset:1024
	global_store_dword v[2:3], v37, off offset:1024
	s_or_b32 exec_lo, exec_lo, s5
	s_mov_b32 s5, exec_lo
	v_cmpx_gt_u32_e64 s4, v8
	s_cbranch_execz .LBB19_118
.LBB19_137:
	v_add_co_u32 v0, vcc_lo, 0x2000, v22
	v_add_co_ci_u32_e64 v1, null, 0, v23, vcc_lo
	v_add_co_u32 v2, vcc_lo, 0x2000, v20
	v_add_co_ci_u32_e64 v3, null, 0, v21, vcc_lo
	s_waitcnt lgkmcnt(7)
	global_store_dword v[0:1], v32, off
	global_store_dword v[2:3], v33, off
	s_or_b32 exec_lo, exec_lo, s5
	s_mov_b32 s5, exec_lo
	v_cmpx_gt_u32_e64 s4, v9
	s_cbranch_execz .LBB19_119
.LBB19_138:
	v_add_co_u32 v0, vcc_lo, 0x2000, v22
	v_add_co_ci_u32_e64 v1, null, 0, v23, vcc_lo
	v_add_co_u32 v2, vcc_lo, 0x2000, v20
	v_add_co_ci_u32_e64 v3, null, 0, v21, vcc_lo
	s_waitcnt lgkmcnt(6)
	global_store_dword v[0:1], v34, off offset:1024
	global_store_dword v[2:3], v35, off offset:1024
	s_or_b32 exec_lo, exec_lo, s5
	s_mov_b32 s5, exec_lo
	v_cmpx_gt_u32_e64 s4, v10
	s_cbranch_execz .LBB19_120
.LBB19_139:
	v_add_co_u32 v0, vcc_lo, 0x2800, v22
	v_add_co_ci_u32_e64 v1, null, 0, v23, vcc_lo
	v_add_co_u32 v2, vcc_lo, 0x2800, v20
	v_add_co_ci_u32_e64 v3, null, 0, v21, vcc_lo
	s_waitcnt lgkmcnt(5)
	global_store_dword v[0:1], v30, off
	global_store_dword v[2:3], v31, off
	s_or_b32 exec_lo, exec_lo, s5
	s_mov_b32 s5, exec_lo
	v_cmpx_gt_u32_e64 s4, v11
	s_cbranch_execz .LBB19_121
.LBB19_140:
	v_add_co_u32 v0, vcc_lo, 0x2800, v22
	v_add_co_ci_u32_e64 v1, null, 0, v23, vcc_lo
	v_add_co_u32 v2, vcc_lo, 0x2800, v20
	v_add_co_ci_u32_e64 v3, null, 0, v21, vcc_lo
	s_waitcnt lgkmcnt(4)
	global_store_dword v[0:1], v28, off offset:1024
	global_store_dword v[2:3], v29, off offset:1024
	s_or_b32 exec_lo, exec_lo, s5
	s_mov_b32 s5, exec_lo
	v_cmpx_gt_u32_e64 s4, v12
	s_cbranch_execz .LBB19_122
.LBB19_141:
	v_add_co_u32 v0, vcc_lo, 0x3000, v22
	v_add_co_ci_u32_e64 v1, null, 0, v23, vcc_lo
	v_add_co_u32 v2, vcc_lo, 0x3000, v20
	v_add_co_ci_u32_e64 v3, null, 0, v21, vcc_lo
	s_waitcnt lgkmcnt(3)
	global_store_dword v[0:1], v26, off
	global_store_dword v[2:3], v27, off
	s_or_b32 exec_lo, exec_lo, s5
	s_mov_b32 s5, exec_lo
	v_cmpx_gt_u32_e64 s4, v13
	s_cbranch_execz .LBB19_123
.LBB19_142:
	v_add_co_u32 v0, vcc_lo, 0x3000, v22
	v_add_co_ci_u32_e64 v1, null, 0, v23, vcc_lo
	v_add_co_u32 v2, vcc_lo, 0x3000, v20
	v_add_co_ci_u32_e64 v3, null, 0, v21, vcc_lo
	s_waitcnt lgkmcnt(2)
	global_store_dword v[0:1], v24, off offset:1024
	global_store_dword v[2:3], v25, off offset:1024
	s_or_b32 exec_lo, exec_lo, s5
	s_mov_b32 s5, exec_lo
	v_cmpx_gt_u32_e64 s4, v14
	s_cbranch_execnz .LBB19_124
	s_branch .LBB19_125
	.section	.rodata,"a",@progbits
	.p2align	6, 0x0
	.amdhsa_kernel _ZN7rocprim17ROCPRIM_400000_NS6detail17trampoline_kernelINS0_14default_configENS1_21merge_config_selectorINS0_5tupleIJifEEENS0_10empty_typeEEEZNS1_10merge_implIS3_NS0_12zip_iteratorINS5_IJN6thrust23THRUST_200600_302600_NS6detail15normal_iteratorINSC_10device_ptrIKiEEEENSE_INSF_IKfEEEEEEEEESN_NSA_INS5_IJNSE_INSF_IiEEEENSE_INSF_IfEEEEEEEEEPS7_SU_SU_NSC_11hip_rocprim7__merge17predicate_wrapperIifNSC_4lessIiEEEEEE10hipError_tPvRmT0_T1_T2_T3_T4_T5_mmT6_P12ihipStream_tbEUlT_E0_NS1_11comp_targetILNS1_3genE8ELNS1_11target_archE1030ELNS1_3gpuE2ELNS1_3repE0EEENS1_30default_config_static_selectorELNS0_4arch9wavefront6targetE0EEEvS15_
		.amdhsa_group_segment_fixed_size 33792
		.amdhsa_private_segment_fixed_size 0
		.amdhsa_kernarg_size 112
		.amdhsa_user_sgpr_count 6
		.amdhsa_user_sgpr_private_segment_buffer 1
		.amdhsa_user_sgpr_dispatch_ptr 0
		.amdhsa_user_sgpr_queue_ptr 0
		.amdhsa_user_sgpr_kernarg_segment_ptr 1
		.amdhsa_user_sgpr_dispatch_id 0
		.amdhsa_user_sgpr_flat_scratch_init 0
		.amdhsa_user_sgpr_private_segment_size 0
		.amdhsa_wavefront_size32 1
		.amdhsa_uses_dynamic_stack 0
		.amdhsa_system_sgpr_private_segment_wavefront_offset 0
		.amdhsa_system_sgpr_workgroup_id_x 1
		.amdhsa_system_sgpr_workgroup_id_y 0
		.amdhsa_system_sgpr_workgroup_id_z 0
		.amdhsa_system_sgpr_workgroup_info 0
		.amdhsa_system_vgpr_workitem_id 0
		.amdhsa_next_free_vgpr 145
		.amdhsa_next_free_sgpr 28
		.amdhsa_reserve_vcc 1
		.amdhsa_reserve_flat_scratch 0
		.amdhsa_float_round_mode_32 0
		.amdhsa_float_round_mode_16_64 0
		.amdhsa_float_denorm_mode_32 3
		.amdhsa_float_denorm_mode_16_64 3
		.amdhsa_dx10_clamp 1
		.amdhsa_ieee_mode 1
		.amdhsa_fp16_overflow 0
		.amdhsa_workgroup_processor_mode 1
		.amdhsa_memory_ordered 1
		.amdhsa_forward_progress 1
		.amdhsa_shared_vgpr_count 0
		.amdhsa_exception_fp_ieee_invalid_op 0
		.amdhsa_exception_fp_denorm_src 0
		.amdhsa_exception_fp_ieee_div_zero 0
		.amdhsa_exception_fp_ieee_overflow 0
		.amdhsa_exception_fp_ieee_underflow 0
		.amdhsa_exception_fp_ieee_inexact 0
		.amdhsa_exception_int_div_zero 0
	.end_amdhsa_kernel
	.section	.text._ZN7rocprim17ROCPRIM_400000_NS6detail17trampoline_kernelINS0_14default_configENS1_21merge_config_selectorINS0_5tupleIJifEEENS0_10empty_typeEEEZNS1_10merge_implIS3_NS0_12zip_iteratorINS5_IJN6thrust23THRUST_200600_302600_NS6detail15normal_iteratorINSC_10device_ptrIKiEEEENSE_INSF_IKfEEEEEEEEESN_NSA_INS5_IJNSE_INSF_IiEEEENSE_INSF_IfEEEEEEEEEPS7_SU_SU_NSC_11hip_rocprim7__merge17predicate_wrapperIifNSC_4lessIiEEEEEE10hipError_tPvRmT0_T1_T2_T3_T4_T5_mmT6_P12ihipStream_tbEUlT_E0_NS1_11comp_targetILNS1_3genE8ELNS1_11target_archE1030ELNS1_3gpuE2ELNS1_3repE0EEENS1_30default_config_static_selectorELNS0_4arch9wavefront6targetE0EEEvS15_,"axG",@progbits,_ZN7rocprim17ROCPRIM_400000_NS6detail17trampoline_kernelINS0_14default_configENS1_21merge_config_selectorINS0_5tupleIJifEEENS0_10empty_typeEEEZNS1_10merge_implIS3_NS0_12zip_iteratorINS5_IJN6thrust23THRUST_200600_302600_NS6detail15normal_iteratorINSC_10device_ptrIKiEEEENSE_INSF_IKfEEEEEEEEESN_NSA_INS5_IJNSE_INSF_IiEEEENSE_INSF_IfEEEEEEEEEPS7_SU_SU_NSC_11hip_rocprim7__merge17predicate_wrapperIifNSC_4lessIiEEEEEE10hipError_tPvRmT0_T1_T2_T3_T4_T5_mmT6_P12ihipStream_tbEUlT_E0_NS1_11comp_targetILNS1_3genE8ELNS1_11target_archE1030ELNS1_3gpuE2ELNS1_3repE0EEENS1_30default_config_static_selectorELNS0_4arch9wavefront6targetE0EEEvS15_,comdat
.Lfunc_end19:
	.size	_ZN7rocprim17ROCPRIM_400000_NS6detail17trampoline_kernelINS0_14default_configENS1_21merge_config_selectorINS0_5tupleIJifEEENS0_10empty_typeEEEZNS1_10merge_implIS3_NS0_12zip_iteratorINS5_IJN6thrust23THRUST_200600_302600_NS6detail15normal_iteratorINSC_10device_ptrIKiEEEENSE_INSF_IKfEEEEEEEEESN_NSA_INS5_IJNSE_INSF_IiEEEENSE_INSF_IfEEEEEEEEEPS7_SU_SU_NSC_11hip_rocprim7__merge17predicate_wrapperIifNSC_4lessIiEEEEEE10hipError_tPvRmT0_T1_T2_T3_T4_T5_mmT6_P12ihipStream_tbEUlT_E0_NS1_11comp_targetILNS1_3genE8ELNS1_11target_archE1030ELNS1_3gpuE2ELNS1_3repE0EEENS1_30default_config_static_selectorELNS0_4arch9wavefront6targetE0EEEvS15_, .Lfunc_end19-_ZN7rocprim17ROCPRIM_400000_NS6detail17trampoline_kernelINS0_14default_configENS1_21merge_config_selectorINS0_5tupleIJifEEENS0_10empty_typeEEEZNS1_10merge_implIS3_NS0_12zip_iteratorINS5_IJN6thrust23THRUST_200600_302600_NS6detail15normal_iteratorINSC_10device_ptrIKiEEEENSE_INSF_IKfEEEEEEEEESN_NSA_INS5_IJNSE_INSF_IiEEEENSE_INSF_IfEEEEEEEEEPS7_SU_SU_NSC_11hip_rocprim7__merge17predicate_wrapperIifNSC_4lessIiEEEEEE10hipError_tPvRmT0_T1_T2_T3_T4_T5_mmT6_P12ihipStream_tbEUlT_E0_NS1_11comp_targetILNS1_3genE8ELNS1_11target_archE1030ELNS1_3gpuE2ELNS1_3repE0EEENS1_30default_config_static_selectorELNS0_4arch9wavefront6targetE0EEEvS15_
                                        ; -- End function
	.set _ZN7rocprim17ROCPRIM_400000_NS6detail17trampoline_kernelINS0_14default_configENS1_21merge_config_selectorINS0_5tupleIJifEEENS0_10empty_typeEEEZNS1_10merge_implIS3_NS0_12zip_iteratorINS5_IJN6thrust23THRUST_200600_302600_NS6detail15normal_iteratorINSC_10device_ptrIKiEEEENSE_INSF_IKfEEEEEEEEESN_NSA_INS5_IJNSE_INSF_IiEEEENSE_INSF_IfEEEEEEEEEPS7_SU_SU_NSC_11hip_rocprim7__merge17predicate_wrapperIifNSC_4lessIiEEEEEE10hipError_tPvRmT0_T1_T2_T3_T4_T5_mmT6_P12ihipStream_tbEUlT_E0_NS1_11comp_targetILNS1_3genE8ELNS1_11target_archE1030ELNS1_3gpuE2ELNS1_3repE0EEENS1_30default_config_static_selectorELNS0_4arch9wavefront6targetE0EEEvS15_.num_vgpr, 76
	.set _ZN7rocprim17ROCPRIM_400000_NS6detail17trampoline_kernelINS0_14default_configENS1_21merge_config_selectorINS0_5tupleIJifEEENS0_10empty_typeEEEZNS1_10merge_implIS3_NS0_12zip_iteratorINS5_IJN6thrust23THRUST_200600_302600_NS6detail15normal_iteratorINSC_10device_ptrIKiEEEENSE_INSF_IKfEEEEEEEEESN_NSA_INS5_IJNSE_INSF_IiEEEENSE_INSF_IfEEEEEEEEEPS7_SU_SU_NSC_11hip_rocprim7__merge17predicate_wrapperIifNSC_4lessIiEEEEEE10hipError_tPvRmT0_T1_T2_T3_T4_T5_mmT6_P12ihipStream_tbEUlT_E0_NS1_11comp_targetILNS1_3genE8ELNS1_11target_archE1030ELNS1_3gpuE2ELNS1_3repE0EEENS1_30default_config_static_selectorELNS0_4arch9wavefront6targetE0EEEvS15_.num_agpr, 0
	.set _ZN7rocprim17ROCPRIM_400000_NS6detail17trampoline_kernelINS0_14default_configENS1_21merge_config_selectorINS0_5tupleIJifEEENS0_10empty_typeEEEZNS1_10merge_implIS3_NS0_12zip_iteratorINS5_IJN6thrust23THRUST_200600_302600_NS6detail15normal_iteratorINSC_10device_ptrIKiEEEENSE_INSF_IKfEEEEEEEEESN_NSA_INS5_IJNSE_INSF_IiEEEENSE_INSF_IfEEEEEEEEEPS7_SU_SU_NSC_11hip_rocprim7__merge17predicate_wrapperIifNSC_4lessIiEEEEEE10hipError_tPvRmT0_T1_T2_T3_T4_T5_mmT6_P12ihipStream_tbEUlT_E0_NS1_11comp_targetILNS1_3genE8ELNS1_11target_archE1030ELNS1_3gpuE2ELNS1_3repE0EEENS1_30default_config_static_selectorELNS0_4arch9wavefront6targetE0EEEvS15_.numbered_sgpr, 28
	.set _ZN7rocprim17ROCPRIM_400000_NS6detail17trampoline_kernelINS0_14default_configENS1_21merge_config_selectorINS0_5tupleIJifEEENS0_10empty_typeEEEZNS1_10merge_implIS3_NS0_12zip_iteratorINS5_IJN6thrust23THRUST_200600_302600_NS6detail15normal_iteratorINSC_10device_ptrIKiEEEENSE_INSF_IKfEEEEEEEEESN_NSA_INS5_IJNSE_INSF_IiEEEENSE_INSF_IfEEEEEEEEEPS7_SU_SU_NSC_11hip_rocprim7__merge17predicate_wrapperIifNSC_4lessIiEEEEEE10hipError_tPvRmT0_T1_T2_T3_T4_T5_mmT6_P12ihipStream_tbEUlT_E0_NS1_11comp_targetILNS1_3genE8ELNS1_11target_archE1030ELNS1_3gpuE2ELNS1_3repE0EEENS1_30default_config_static_selectorELNS0_4arch9wavefront6targetE0EEEvS15_.num_named_barrier, 0
	.set _ZN7rocprim17ROCPRIM_400000_NS6detail17trampoline_kernelINS0_14default_configENS1_21merge_config_selectorINS0_5tupleIJifEEENS0_10empty_typeEEEZNS1_10merge_implIS3_NS0_12zip_iteratorINS5_IJN6thrust23THRUST_200600_302600_NS6detail15normal_iteratorINSC_10device_ptrIKiEEEENSE_INSF_IKfEEEEEEEEESN_NSA_INS5_IJNSE_INSF_IiEEEENSE_INSF_IfEEEEEEEEEPS7_SU_SU_NSC_11hip_rocprim7__merge17predicate_wrapperIifNSC_4lessIiEEEEEE10hipError_tPvRmT0_T1_T2_T3_T4_T5_mmT6_P12ihipStream_tbEUlT_E0_NS1_11comp_targetILNS1_3genE8ELNS1_11target_archE1030ELNS1_3gpuE2ELNS1_3repE0EEENS1_30default_config_static_selectorELNS0_4arch9wavefront6targetE0EEEvS15_.private_seg_size, 0
	.set _ZN7rocprim17ROCPRIM_400000_NS6detail17trampoline_kernelINS0_14default_configENS1_21merge_config_selectorINS0_5tupleIJifEEENS0_10empty_typeEEEZNS1_10merge_implIS3_NS0_12zip_iteratorINS5_IJN6thrust23THRUST_200600_302600_NS6detail15normal_iteratorINSC_10device_ptrIKiEEEENSE_INSF_IKfEEEEEEEEESN_NSA_INS5_IJNSE_INSF_IiEEEENSE_INSF_IfEEEEEEEEEPS7_SU_SU_NSC_11hip_rocprim7__merge17predicate_wrapperIifNSC_4lessIiEEEEEE10hipError_tPvRmT0_T1_T2_T3_T4_T5_mmT6_P12ihipStream_tbEUlT_E0_NS1_11comp_targetILNS1_3genE8ELNS1_11target_archE1030ELNS1_3gpuE2ELNS1_3repE0EEENS1_30default_config_static_selectorELNS0_4arch9wavefront6targetE0EEEvS15_.uses_vcc, 1
	.set _ZN7rocprim17ROCPRIM_400000_NS6detail17trampoline_kernelINS0_14default_configENS1_21merge_config_selectorINS0_5tupleIJifEEENS0_10empty_typeEEEZNS1_10merge_implIS3_NS0_12zip_iteratorINS5_IJN6thrust23THRUST_200600_302600_NS6detail15normal_iteratorINSC_10device_ptrIKiEEEENSE_INSF_IKfEEEEEEEEESN_NSA_INS5_IJNSE_INSF_IiEEEENSE_INSF_IfEEEEEEEEEPS7_SU_SU_NSC_11hip_rocprim7__merge17predicate_wrapperIifNSC_4lessIiEEEEEE10hipError_tPvRmT0_T1_T2_T3_T4_T5_mmT6_P12ihipStream_tbEUlT_E0_NS1_11comp_targetILNS1_3genE8ELNS1_11target_archE1030ELNS1_3gpuE2ELNS1_3repE0EEENS1_30default_config_static_selectorELNS0_4arch9wavefront6targetE0EEEvS15_.uses_flat_scratch, 0
	.set _ZN7rocprim17ROCPRIM_400000_NS6detail17trampoline_kernelINS0_14default_configENS1_21merge_config_selectorINS0_5tupleIJifEEENS0_10empty_typeEEEZNS1_10merge_implIS3_NS0_12zip_iteratorINS5_IJN6thrust23THRUST_200600_302600_NS6detail15normal_iteratorINSC_10device_ptrIKiEEEENSE_INSF_IKfEEEEEEEEESN_NSA_INS5_IJNSE_INSF_IiEEEENSE_INSF_IfEEEEEEEEEPS7_SU_SU_NSC_11hip_rocprim7__merge17predicate_wrapperIifNSC_4lessIiEEEEEE10hipError_tPvRmT0_T1_T2_T3_T4_T5_mmT6_P12ihipStream_tbEUlT_E0_NS1_11comp_targetILNS1_3genE8ELNS1_11target_archE1030ELNS1_3gpuE2ELNS1_3repE0EEENS1_30default_config_static_selectorELNS0_4arch9wavefront6targetE0EEEvS15_.has_dyn_sized_stack, 0
	.set _ZN7rocprim17ROCPRIM_400000_NS6detail17trampoline_kernelINS0_14default_configENS1_21merge_config_selectorINS0_5tupleIJifEEENS0_10empty_typeEEEZNS1_10merge_implIS3_NS0_12zip_iteratorINS5_IJN6thrust23THRUST_200600_302600_NS6detail15normal_iteratorINSC_10device_ptrIKiEEEENSE_INSF_IKfEEEEEEEEESN_NSA_INS5_IJNSE_INSF_IiEEEENSE_INSF_IfEEEEEEEEEPS7_SU_SU_NSC_11hip_rocprim7__merge17predicate_wrapperIifNSC_4lessIiEEEEEE10hipError_tPvRmT0_T1_T2_T3_T4_T5_mmT6_P12ihipStream_tbEUlT_E0_NS1_11comp_targetILNS1_3genE8ELNS1_11target_archE1030ELNS1_3gpuE2ELNS1_3repE0EEENS1_30default_config_static_selectorELNS0_4arch9wavefront6targetE0EEEvS15_.has_recursion, 0
	.set _ZN7rocprim17ROCPRIM_400000_NS6detail17trampoline_kernelINS0_14default_configENS1_21merge_config_selectorINS0_5tupleIJifEEENS0_10empty_typeEEEZNS1_10merge_implIS3_NS0_12zip_iteratorINS5_IJN6thrust23THRUST_200600_302600_NS6detail15normal_iteratorINSC_10device_ptrIKiEEEENSE_INSF_IKfEEEEEEEEESN_NSA_INS5_IJNSE_INSF_IiEEEENSE_INSF_IfEEEEEEEEEPS7_SU_SU_NSC_11hip_rocprim7__merge17predicate_wrapperIifNSC_4lessIiEEEEEE10hipError_tPvRmT0_T1_T2_T3_T4_T5_mmT6_P12ihipStream_tbEUlT_E0_NS1_11comp_targetILNS1_3genE8ELNS1_11target_archE1030ELNS1_3gpuE2ELNS1_3repE0EEENS1_30default_config_static_selectorELNS0_4arch9wavefront6targetE0EEEvS15_.has_indirect_call, 0
	.section	.AMDGPU.csdata,"",@progbits
; Kernel info:
; codeLenInByte = 8104
; TotalNumSgprs: 30
; NumVgprs: 76
; ScratchSize: 0
; MemoryBound: 0
; FloatMode: 240
; IeeeMode: 1
; LDSByteSize: 33792 bytes/workgroup (compile time only)
; SGPRBlocks: 0
; VGPRBlocks: 18
; NumSGPRsForWavesPerEU: 30
; NumVGPRsForWavesPerEU: 145
; Occupancy: 6
; WaveLimiterHint : 1
; COMPUTE_PGM_RSRC2:SCRATCH_EN: 0
; COMPUTE_PGM_RSRC2:USER_SGPR: 6
; COMPUTE_PGM_RSRC2:TRAP_HANDLER: 0
; COMPUTE_PGM_RSRC2:TGID_X_EN: 1
; COMPUTE_PGM_RSRC2:TGID_Y_EN: 0
; COMPUTE_PGM_RSRC2:TGID_Z_EN: 0
; COMPUTE_PGM_RSRC2:TIDIG_COMP_CNT: 0
	.section	.text._ZN7rocprim17ROCPRIM_400000_NS6detail17trampoline_kernelINS0_14default_configENS1_22reduce_config_selectorImEEZNS1_11reduce_implILb1ES3_PmS7_mN6thrust23THRUST_200600_302600_NS4plusImEEEE10hipError_tPvRmT1_T2_T3_mT4_P12ihipStream_tbEUlT_E0_NS1_11comp_targetILNS1_3genE0ELNS1_11target_archE4294967295ELNS1_3gpuE0ELNS1_3repE0EEENS1_30default_config_static_selectorELNS0_4arch9wavefront6targetE0EEEvSF_,"axG",@progbits,_ZN7rocprim17ROCPRIM_400000_NS6detail17trampoline_kernelINS0_14default_configENS1_22reduce_config_selectorImEEZNS1_11reduce_implILb1ES3_PmS7_mN6thrust23THRUST_200600_302600_NS4plusImEEEE10hipError_tPvRmT1_T2_T3_mT4_P12ihipStream_tbEUlT_E0_NS1_11comp_targetILNS1_3genE0ELNS1_11target_archE4294967295ELNS1_3gpuE0ELNS1_3repE0EEENS1_30default_config_static_selectorELNS0_4arch9wavefront6targetE0EEEvSF_,comdat
	.protected	_ZN7rocprim17ROCPRIM_400000_NS6detail17trampoline_kernelINS0_14default_configENS1_22reduce_config_selectorImEEZNS1_11reduce_implILb1ES3_PmS7_mN6thrust23THRUST_200600_302600_NS4plusImEEEE10hipError_tPvRmT1_T2_T3_mT4_P12ihipStream_tbEUlT_E0_NS1_11comp_targetILNS1_3genE0ELNS1_11target_archE4294967295ELNS1_3gpuE0ELNS1_3repE0EEENS1_30default_config_static_selectorELNS0_4arch9wavefront6targetE0EEEvSF_ ; -- Begin function _ZN7rocprim17ROCPRIM_400000_NS6detail17trampoline_kernelINS0_14default_configENS1_22reduce_config_selectorImEEZNS1_11reduce_implILb1ES3_PmS7_mN6thrust23THRUST_200600_302600_NS4plusImEEEE10hipError_tPvRmT1_T2_T3_mT4_P12ihipStream_tbEUlT_E0_NS1_11comp_targetILNS1_3genE0ELNS1_11target_archE4294967295ELNS1_3gpuE0ELNS1_3repE0EEENS1_30default_config_static_selectorELNS0_4arch9wavefront6targetE0EEEvSF_
	.globl	_ZN7rocprim17ROCPRIM_400000_NS6detail17trampoline_kernelINS0_14default_configENS1_22reduce_config_selectorImEEZNS1_11reduce_implILb1ES3_PmS7_mN6thrust23THRUST_200600_302600_NS4plusImEEEE10hipError_tPvRmT1_T2_T3_mT4_P12ihipStream_tbEUlT_E0_NS1_11comp_targetILNS1_3genE0ELNS1_11target_archE4294967295ELNS1_3gpuE0ELNS1_3repE0EEENS1_30default_config_static_selectorELNS0_4arch9wavefront6targetE0EEEvSF_
	.p2align	8
	.type	_ZN7rocprim17ROCPRIM_400000_NS6detail17trampoline_kernelINS0_14default_configENS1_22reduce_config_selectorImEEZNS1_11reduce_implILb1ES3_PmS7_mN6thrust23THRUST_200600_302600_NS4plusImEEEE10hipError_tPvRmT1_T2_T3_mT4_P12ihipStream_tbEUlT_E0_NS1_11comp_targetILNS1_3genE0ELNS1_11target_archE4294967295ELNS1_3gpuE0ELNS1_3repE0EEENS1_30default_config_static_selectorELNS0_4arch9wavefront6targetE0EEEvSF_,@function
_ZN7rocprim17ROCPRIM_400000_NS6detail17trampoline_kernelINS0_14default_configENS1_22reduce_config_selectorImEEZNS1_11reduce_implILb1ES3_PmS7_mN6thrust23THRUST_200600_302600_NS4plusImEEEE10hipError_tPvRmT1_T2_T3_mT4_P12ihipStream_tbEUlT_E0_NS1_11comp_targetILNS1_3genE0ELNS1_11target_archE4294967295ELNS1_3gpuE0ELNS1_3repE0EEENS1_30default_config_static_selectorELNS0_4arch9wavefront6targetE0EEEvSF_: ; @_ZN7rocprim17ROCPRIM_400000_NS6detail17trampoline_kernelINS0_14default_configENS1_22reduce_config_selectorImEEZNS1_11reduce_implILb1ES3_PmS7_mN6thrust23THRUST_200600_302600_NS4plusImEEEE10hipError_tPvRmT1_T2_T3_mT4_P12ihipStream_tbEUlT_E0_NS1_11comp_targetILNS1_3genE0ELNS1_11target_archE4294967295ELNS1_3gpuE0ELNS1_3repE0EEENS1_30default_config_static_selectorELNS0_4arch9wavefront6targetE0EEEvSF_
; %bb.0:
	.section	.rodata,"a",@progbits
	.p2align	6, 0x0
	.amdhsa_kernel _ZN7rocprim17ROCPRIM_400000_NS6detail17trampoline_kernelINS0_14default_configENS1_22reduce_config_selectorImEEZNS1_11reduce_implILb1ES3_PmS7_mN6thrust23THRUST_200600_302600_NS4plusImEEEE10hipError_tPvRmT1_T2_T3_mT4_P12ihipStream_tbEUlT_E0_NS1_11comp_targetILNS1_3genE0ELNS1_11target_archE4294967295ELNS1_3gpuE0ELNS1_3repE0EEENS1_30default_config_static_selectorELNS0_4arch9wavefront6targetE0EEEvSF_
		.amdhsa_group_segment_fixed_size 0
		.amdhsa_private_segment_fixed_size 0
		.amdhsa_kernarg_size 64
		.amdhsa_user_sgpr_count 6
		.amdhsa_user_sgpr_private_segment_buffer 1
		.amdhsa_user_sgpr_dispatch_ptr 0
		.amdhsa_user_sgpr_queue_ptr 0
		.amdhsa_user_sgpr_kernarg_segment_ptr 1
		.amdhsa_user_sgpr_dispatch_id 0
		.amdhsa_user_sgpr_flat_scratch_init 0
		.amdhsa_user_sgpr_private_segment_size 0
		.amdhsa_wavefront_size32 1
		.amdhsa_uses_dynamic_stack 0
		.amdhsa_system_sgpr_private_segment_wavefront_offset 0
		.amdhsa_system_sgpr_workgroup_id_x 1
		.amdhsa_system_sgpr_workgroup_id_y 0
		.amdhsa_system_sgpr_workgroup_id_z 0
		.amdhsa_system_sgpr_workgroup_info 0
		.amdhsa_system_vgpr_workitem_id 0
		.amdhsa_next_free_vgpr 1
		.amdhsa_next_free_sgpr 1
		.amdhsa_reserve_vcc 0
		.amdhsa_reserve_flat_scratch 0
		.amdhsa_float_round_mode_32 0
		.amdhsa_float_round_mode_16_64 0
		.amdhsa_float_denorm_mode_32 3
		.amdhsa_float_denorm_mode_16_64 3
		.amdhsa_dx10_clamp 1
		.amdhsa_ieee_mode 1
		.amdhsa_fp16_overflow 0
		.amdhsa_workgroup_processor_mode 1
		.amdhsa_memory_ordered 1
		.amdhsa_forward_progress 1
		.amdhsa_shared_vgpr_count 0
		.amdhsa_exception_fp_ieee_invalid_op 0
		.amdhsa_exception_fp_denorm_src 0
		.amdhsa_exception_fp_ieee_div_zero 0
		.amdhsa_exception_fp_ieee_overflow 0
		.amdhsa_exception_fp_ieee_underflow 0
		.amdhsa_exception_fp_ieee_inexact 0
		.amdhsa_exception_int_div_zero 0
	.end_amdhsa_kernel
	.section	.text._ZN7rocprim17ROCPRIM_400000_NS6detail17trampoline_kernelINS0_14default_configENS1_22reduce_config_selectorImEEZNS1_11reduce_implILb1ES3_PmS7_mN6thrust23THRUST_200600_302600_NS4plusImEEEE10hipError_tPvRmT1_T2_T3_mT4_P12ihipStream_tbEUlT_E0_NS1_11comp_targetILNS1_3genE0ELNS1_11target_archE4294967295ELNS1_3gpuE0ELNS1_3repE0EEENS1_30default_config_static_selectorELNS0_4arch9wavefront6targetE0EEEvSF_,"axG",@progbits,_ZN7rocprim17ROCPRIM_400000_NS6detail17trampoline_kernelINS0_14default_configENS1_22reduce_config_selectorImEEZNS1_11reduce_implILb1ES3_PmS7_mN6thrust23THRUST_200600_302600_NS4plusImEEEE10hipError_tPvRmT1_T2_T3_mT4_P12ihipStream_tbEUlT_E0_NS1_11comp_targetILNS1_3genE0ELNS1_11target_archE4294967295ELNS1_3gpuE0ELNS1_3repE0EEENS1_30default_config_static_selectorELNS0_4arch9wavefront6targetE0EEEvSF_,comdat
.Lfunc_end20:
	.size	_ZN7rocprim17ROCPRIM_400000_NS6detail17trampoline_kernelINS0_14default_configENS1_22reduce_config_selectorImEEZNS1_11reduce_implILb1ES3_PmS7_mN6thrust23THRUST_200600_302600_NS4plusImEEEE10hipError_tPvRmT1_T2_T3_mT4_P12ihipStream_tbEUlT_E0_NS1_11comp_targetILNS1_3genE0ELNS1_11target_archE4294967295ELNS1_3gpuE0ELNS1_3repE0EEENS1_30default_config_static_selectorELNS0_4arch9wavefront6targetE0EEEvSF_, .Lfunc_end20-_ZN7rocprim17ROCPRIM_400000_NS6detail17trampoline_kernelINS0_14default_configENS1_22reduce_config_selectorImEEZNS1_11reduce_implILb1ES3_PmS7_mN6thrust23THRUST_200600_302600_NS4plusImEEEE10hipError_tPvRmT1_T2_T3_mT4_P12ihipStream_tbEUlT_E0_NS1_11comp_targetILNS1_3genE0ELNS1_11target_archE4294967295ELNS1_3gpuE0ELNS1_3repE0EEENS1_30default_config_static_selectorELNS0_4arch9wavefront6targetE0EEEvSF_
                                        ; -- End function
	.set _ZN7rocprim17ROCPRIM_400000_NS6detail17trampoline_kernelINS0_14default_configENS1_22reduce_config_selectorImEEZNS1_11reduce_implILb1ES3_PmS7_mN6thrust23THRUST_200600_302600_NS4plusImEEEE10hipError_tPvRmT1_T2_T3_mT4_P12ihipStream_tbEUlT_E0_NS1_11comp_targetILNS1_3genE0ELNS1_11target_archE4294967295ELNS1_3gpuE0ELNS1_3repE0EEENS1_30default_config_static_selectorELNS0_4arch9wavefront6targetE0EEEvSF_.num_vgpr, 0
	.set _ZN7rocprim17ROCPRIM_400000_NS6detail17trampoline_kernelINS0_14default_configENS1_22reduce_config_selectorImEEZNS1_11reduce_implILb1ES3_PmS7_mN6thrust23THRUST_200600_302600_NS4plusImEEEE10hipError_tPvRmT1_T2_T3_mT4_P12ihipStream_tbEUlT_E0_NS1_11comp_targetILNS1_3genE0ELNS1_11target_archE4294967295ELNS1_3gpuE0ELNS1_3repE0EEENS1_30default_config_static_selectorELNS0_4arch9wavefront6targetE0EEEvSF_.num_agpr, 0
	.set _ZN7rocprim17ROCPRIM_400000_NS6detail17trampoline_kernelINS0_14default_configENS1_22reduce_config_selectorImEEZNS1_11reduce_implILb1ES3_PmS7_mN6thrust23THRUST_200600_302600_NS4plusImEEEE10hipError_tPvRmT1_T2_T3_mT4_P12ihipStream_tbEUlT_E0_NS1_11comp_targetILNS1_3genE0ELNS1_11target_archE4294967295ELNS1_3gpuE0ELNS1_3repE0EEENS1_30default_config_static_selectorELNS0_4arch9wavefront6targetE0EEEvSF_.numbered_sgpr, 0
	.set _ZN7rocprim17ROCPRIM_400000_NS6detail17trampoline_kernelINS0_14default_configENS1_22reduce_config_selectorImEEZNS1_11reduce_implILb1ES3_PmS7_mN6thrust23THRUST_200600_302600_NS4plusImEEEE10hipError_tPvRmT1_T2_T3_mT4_P12ihipStream_tbEUlT_E0_NS1_11comp_targetILNS1_3genE0ELNS1_11target_archE4294967295ELNS1_3gpuE0ELNS1_3repE0EEENS1_30default_config_static_selectorELNS0_4arch9wavefront6targetE0EEEvSF_.num_named_barrier, 0
	.set _ZN7rocprim17ROCPRIM_400000_NS6detail17trampoline_kernelINS0_14default_configENS1_22reduce_config_selectorImEEZNS1_11reduce_implILb1ES3_PmS7_mN6thrust23THRUST_200600_302600_NS4plusImEEEE10hipError_tPvRmT1_T2_T3_mT4_P12ihipStream_tbEUlT_E0_NS1_11comp_targetILNS1_3genE0ELNS1_11target_archE4294967295ELNS1_3gpuE0ELNS1_3repE0EEENS1_30default_config_static_selectorELNS0_4arch9wavefront6targetE0EEEvSF_.private_seg_size, 0
	.set _ZN7rocprim17ROCPRIM_400000_NS6detail17trampoline_kernelINS0_14default_configENS1_22reduce_config_selectorImEEZNS1_11reduce_implILb1ES3_PmS7_mN6thrust23THRUST_200600_302600_NS4plusImEEEE10hipError_tPvRmT1_T2_T3_mT4_P12ihipStream_tbEUlT_E0_NS1_11comp_targetILNS1_3genE0ELNS1_11target_archE4294967295ELNS1_3gpuE0ELNS1_3repE0EEENS1_30default_config_static_selectorELNS0_4arch9wavefront6targetE0EEEvSF_.uses_vcc, 0
	.set _ZN7rocprim17ROCPRIM_400000_NS6detail17trampoline_kernelINS0_14default_configENS1_22reduce_config_selectorImEEZNS1_11reduce_implILb1ES3_PmS7_mN6thrust23THRUST_200600_302600_NS4plusImEEEE10hipError_tPvRmT1_T2_T3_mT4_P12ihipStream_tbEUlT_E0_NS1_11comp_targetILNS1_3genE0ELNS1_11target_archE4294967295ELNS1_3gpuE0ELNS1_3repE0EEENS1_30default_config_static_selectorELNS0_4arch9wavefront6targetE0EEEvSF_.uses_flat_scratch, 0
	.set _ZN7rocprim17ROCPRIM_400000_NS6detail17trampoline_kernelINS0_14default_configENS1_22reduce_config_selectorImEEZNS1_11reduce_implILb1ES3_PmS7_mN6thrust23THRUST_200600_302600_NS4plusImEEEE10hipError_tPvRmT1_T2_T3_mT4_P12ihipStream_tbEUlT_E0_NS1_11comp_targetILNS1_3genE0ELNS1_11target_archE4294967295ELNS1_3gpuE0ELNS1_3repE0EEENS1_30default_config_static_selectorELNS0_4arch9wavefront6targetE0EEEvSF_.has_dyn_sized_stack, 0
	.set _ZN7rocprim17ROCPRIM_400000_NS6detail17trampoline_kernelINS0_14default_configENS1_22reduce_config_selectorImEEZNS1_11reduce_implILb1ES3_PmS7_mN6thrust23THRUST_200600_302600_NS4plusImEEEE10hipError_tPvRmT1_T2_T3_mT4_P12ihipStream_tbEUlT_E0_NS1_11comp_targetILNS1_3genE0ELNS1_11target_archE4294967295ELNS1_3gpuE0ELNS1_3repE0EEENS1_30default_config_static_selectorELNS0_4arch9wavefront6targetE0EEEvSF_.has_recursion, 0
	.set _ZN7rocprim17ROCPRIM_400000_NS6detail17trampoline_kernelINS0_14default_configENS1_22reduce_config_selectorImEEZNS1_11reduce_implILb1ES3_PmS7_mN6thrust23THRUST_200600_302600_NS4plusImEEEE10hipError_tPvRmT1_T2_T3_mT4_P12ihipStream_tbEUlT_E0_NS1_11comp_targetILNS1_3genE0ELNS1_11target_archE4294967295ELNS1_3gpuE0ELNS1_3repE0EEENS1_30default_config_static_selectorELNS0_4arch9wavefront6targetE0EEEvSF_.has_indirect_call, 0
	.section	.AMDGPU.csdata,"",@progbits
; Kernel info:
; codeLenInByte = 0
; TotalNumSgprs: 0
; NumVgprs: 0
; ScratchSize: 0
; MemoryBound: 0
; FloatMode: 240
; IeeeMode: 1
; LDSByteSize: 0 bytes/workgroup (compile time only)
; SGPRBlocks: 0
; VGPRBlocks: 0
; NumSGPRsForWavesPerEU: 1
; NumVGPRsForWavesPerEU: 1
; Occupancy: 16
; WaveLimiterHint : 0
; COMPUTE_PGM_RSRC2:SCRATCH_EN: 0
; COMPUTE_PGM_RSRC2:USER_SGPR: 6
; COMPUTE_PGM_RSRC2:TRAP_HANDLER: 0
; COMPUTE_PGM_RSRC2:TGID_X_EN: 1
; COMPUTE_PGM_RSRC2:TGID_Y_EN: 0
; COMPUTE_PGM_RSRC2:TGID_Z_EN: 0
; COMPUTE_PGM_RSRC2:TIDIG_COMP_CNT: 0
	.section	.text._ZN7rocprim17ROCPRIM_400000_NS6detail17trampoline_kernelINS0_14default_configENS1_22reduce_config_selectorImEEZNS1_11reduce_implILb1ES3_PmS7_mN6thrust23THRUST_200600_302600_NS4plusImEEEE10hipError_tPvRmT1_T2_T3_mT4_P12ihipStream_tbEUlT_E0_NS1_11comp_targetILNS1_3genE5ELNS1_11target_archE942ELNS1_3gpuE9ELNS1_3repE0EEENS1_30default_config_static_selectorELNS0_4arch9wavefront6targetE0EEEvSF_,"axG",@progbits,_ZN7rocprim17ROCPRIM_400000_NS6detail17trampoline_kernelINS0_14default_configENS1_22reduce_config_selectorImEEZNS1_11reduce_implILb1ES3_PmS7_mN6thrust23THRUST_200600_302600_NS4plusImEEEE10hipError_tPvRmT1_T2_T3_mT4_P12ihipStream_tbEUlT_E0_NS1_11comp_targetILNS1_3genE5ELNS1_11target_archE942ELNS1_3gpuE9ELNS1_3repE0EEENS1_30default_config_static_selectorELNS0_4arch9wavefront6targetE0EEEvSF_,comdat
	.protected	_ZN7rocprim17ROCPRIM_400000_NS6detail17trampoline_kernelINS0_14default_configENS1_22reduce_config_selectorImEEZNS1_11reduce_implILb1ES3_PmS7_mN6thrust23THRUST_200600_302600_NS4plusImEEEE10hipError_tPvRmT1_T2_T3_mT4_P12ihipStream_tbEUlT_E0_NS1_11comp_targetILNS1_3genE5ELNS1_11target_archE942ELNS1_3gpuE9ELNS1_3repE0EEENS1_30default_config_static_selectorELNS0_4arch9wavefront6targetE0EEEvSF_ ; -- Begin function _ZN7rocprim17ROCPRIM_400000_NS6detail17trampoline_kernelINS0_14default_configENS1_22reduce_config_selectorImEEZNS1_11reduce_implILb1ES3_PmS7_mN6thrust23THRUST_200600_302600_NS4plusImEEEE10hipError_tPvRmT1_T2_T3_mT4_P12ihipStream_tbEUlT_E0_NS1_11comp_targetILNS1_3genE5ELNS1_11target_archE942ELNS1_3gpuE9ELNS1_3repE0EEENS1_30default_config_static_selectorELNS0_4arch9wavefront6targetE0EEEvSF_
	.globl	_ZN7rocprim17ROCPRIM_400000_NS6detail17trampoline_kernelINS0_14default_configENS1_22reduce_config_selectorImEEZNS1_11reduce_implILb1ES3_PmS7_mN6thrust23THRUST_200600_302600_NS4plusImEEEE10hipError_tPvRmT1_T2_T3_mT4_P12ihipStream_tbEUlT_E0_NS1_11comp_targetILNS1_3genE5ELNS1_11target_archE942ELNS1_3gpuE9ELNS1_3repE0EEENS1_30default_config_static_selectorELNS0_4arch9wavefront6targetE0EEEvSF_
	.p2align	8
	.type	_ZN7rocprim17ROCPRIM_400000_NS6detail17trampoline_kernelINS0_14default_configENS1_22reduce_config_selectorImEEZNS1_11reduce_implILb1ES3_PmS7_mN6thrust23THRUST_200600_302600_NS4plusImEEEE10hipError_tPvRmT1_T2_T3_mT4_P12ihipStream_tbEUlT_E0_NS1_11comp_targetILNS1_3genE5ELNS1_11target_archE942ELNS1_3gpuE9ELNS1_3repE0EEENS1_30default_config_static_selectorELNS0_4arch9wavefront6targetE0EEEvSF_,@function
_ZN7rocprim17ROCPRIM_400000_NS6detail17trampoline_kernelINS0_14default_configENS1_22reduce_config_selectorImEEZNS1_11reduce_implILb1ES3_PmS7_mN6thrust23THRUST_200600_302600_NS4plusImEEEE10hipError_tPvRmT1_T2_T3_mT4_P12ihipStream_tbEUlT_E0_NS1_11comp_targetILNS1_3genE5ELNS1_11target_archE942ELNS1_3gpuE9ELNS1_3repE0EEENS1_30default_config_static_selectorELNS0_4arch9wavefront6targetE0EEEvSF_: ; @_ZN7rocprim17ROCPRIM_400000_NS6detail17trampoline_kernelINS0_14default_configENS1_22reduce_config_selectorImEEZNS1_11reduce_implILb1ES3_PmS7_mN6thrust23THRUST_200600_302600_NS4plusImEEEE10hipError_tPvRmT1_T2_T3_mT4_P12ihipStream_tbEUlT_E0_NS1_11comp_targetILNS1_3genE5ELNS1_11target_archE942ELNS1_3gpuE9ELNS1_3repE0EEENS1_30default_config_static_selectorELNS0_4arch9wavefront6targetE0EEEvSF_
; %bb.0:
	.section	.rodata,"a",@progbits
	.p2align	6, 0x0
	.amdhsa_kernel _ZN7rocprim17ROCPRIM_400000_NS6detail17trampoline_kernelINS0_14default_configENS1_22reduce_config_selectorImEEZNS1_11reduce_implILb1ES3_PmS7_mN6thrust23THRUST_200600_302600_NS4plusImEEEE10hipError_tPvRmT1_T2_T3_mT4_P12ihipStream_tbEUlT_E0_NS1_11comp_targetILNS1_3genE5ELNS1_11target_archE942ELNS1_3gpuE9ELNS1_3repE0EEENS1_30default_config_static_selectorELNS0_4arch9wavefront6targetE0EEEvSF_
		.amdhsa_group_segment_fixed_size 0
		.amdhsa_private_segment_fixed_size 0
		.amdhsa_kernarg_size 64
		.amdhsa_user_sgpr_count 6
		.amdhsa_user_sgpr_private_segment_buffer 1
		.amdhsa_user_sgpr_dispatch_ptr 0
		.amdhsa_user_sgpr_queue_ptr 0
		.amdhsa_user_sgpr_kernarg_segment_ptr 1
		.amdhsa_user_sgpr_dispatch_id 0
		.amdhsa_user_sgpr_flat_scratch_init 0
		.amdhsa_user_sgpr_private_segment_size 0
		.amdhsa_wavefront_size32 1
		.amdhsa_uses_dynamic_stack 0
		.amdhsa_system_sgpr_private_segment_wavefront_offset 0
		.amdhsa_system_sgpr_workgroup_id_x 1
		.amdhsa_system_sgpr_workgroup_id_y 0
		.amdhsa_system_sgpr_workgroup_id_z 0
		.amdhsa_system_sgpr_workgroup_info 0
		.amdhsa_system_vgpr_workitem_id 0
		.amdhsa_next_free_vgpr 1
		.amdhsa_next_free_sgpr 1
		.amdhsa_reserve_vcc 0
		.amdhsa_reserve_flat_scratch 0
		.amdhsa_float_round_mode_32 0
		.amdhsa_float_round_mode_16_64 0
		.amdhsa_float_denorm_mode_32 3
		.amdhsa_float_denorm_mode_16_64 3
		.amdhsa_dx10_clamp 1
		.amdhsa_ieee_mode 1
		.amdhsa_fp16_overflow 0
		.amdhsa_workgroup_processor_mode 1
		.amdhsa_memory_ordered 1
		.amdhsa_forward_progress 1
		.amdhsa_shared_vgpr_count 0
		.amdhsa_exception_fp_ieee_invalid_op 0
		.amdhsa_exception_fp_denorm_src 0
		.amdhsa_exception_fp_ieee_div_zero 0
		.amdhsa_exception_fp_ieee_overflow 0
		.amdhsa_exception_fp_ieee_underflow 0
		.amdhsa_exception_fp_ieee_inexact 0
		.amdhsa_exception_int_div_zero 0
	.end_amdhsa_kernel
	.section	.text._ZN7rocprim17ROCPRIM_400000_NS6detail17trampoline_kernelINS0_14default_configENS1_22reduce_config_selectorImEEZNS1_11reduce_implILb1ES3_PmS7_mN6thrust23THRUST_200600_302600_NS4plusImEEEE10hipError_tPvRmT1_T2_T3_mT4_P12ihipStream_tbEUlT_E0_NS1_11comp_targetILNS1_3genE5ELNS1_11target_archE942ELNS1_3gpuE9ELNS1_3repE0EEENS1_30default_config_static_selectorELNS0_4arch9wavefront6targetE0EEEvSF_,"axG",@progbits,_ZN7rocprim17ROCPRIM_400000_NS6detail17trampoline_kernelINS0_14default_configENS1_22reduce_config_selectorImEEZNS1_11reduce_implILb1ES3_PmS7_mN6thrust23THRUST_200600_302600_NS4plusImEEEE10hipError_tPvRmT1_T2_T3_mT4_P12ihipStream_tbEUlT_E0_NS1_11comp_targetILNS1_3genE5ELNS1_11target_archE942ELNS1_3gpuE9ELNS1_3repE0EEENS1_30default_config_static_selectorELNS0_4arch9wavefront6targetE0EEEvSF_,comdat
.Lfunc_end21:
	.size	_ZN7rocprim17ROCPRIM_400000_NS6detail17trampoline_kernelINS0_14default_configENS1_22reduce_config_selectorImEEZNS1_11reduce_implILb1ES3_PmS7_mN6thrust23THRUST_200600_302600_NS4plusImEEEE10hipError_tPvRmT1_T2_T3_mT4_P12ihipStream_tbEUlT_E0_NS1_11comp_targetILNS1_3genE5ELNS1_11target_archE942ELNS1_3gpuE9ELNS1_3repE0EEENS1_30default_config_static_selectorELNS0_4arch9wavefront6targetE0EEEvSF_, .Lfunc_end21-_ZN7rocprim17ROCPRIM_400000_NS6detail17trampoline_kernelINS0_14default_configENS1_22reduce_config_selectorImEEZNS1_11reduce_implILb1ES3_PmS7_mN6thrust23THRUST_200600_302600_NS4plusImEEEE10hipError_tPvRmT1_T2_T3_mT4_P12ihipStream_tbEUlT_E0_NS1_11comp_targetILNS1_3genE5ELNS1_11target_archE942ELNS1_3gpuE9ELNS1_3repE0EEENS1_30default_config_static_selectorELNS0_4arch9wavefront6targetE0EEEvSF_
                                        ; -- End function
	.set _ZN7rocprim17ROCPRIM_400000_NS6detail17trampoline_kernelINS0_14default_configENS1_22reduce_config_selectorImEEZNS1_11reduce_implILb1ES3_PmS7_mN6thrust23THRUST_200600_302600_NS4plusImEEEE10hipError_tPvRmT1_T2_T3_mT4_P12ihipStream_tbEUlT_E0_NS1_11comp_targetILNS1_3genE5ELNS1_11target_archE942ELNS1_3gpuE9ELNS1_3repE0EEENS1_30default_config_static_selectorELNS0_4arch9wavefront6targetE0EEEvSF_.num_vgpr, 0
	.set _ZN7rocprim17ROCPRIM_400000_NS6detail17trampoline_kernelINS0_14default_configENS1_22reduce_config_selectorImEEZNS1_11reduce_implILb1ES3_PmS7_mN6thrust23THRUST_200600_302600_NS4plusImEEEE10hipError_tPvRmT1_T2_T3_mT4_P12ihipStream_tbEUlT_E0_NS1_11comp_targetILNS1_3genE5ELNS1_11target_archE942ELNS1_3gpuE9ELNS1_3repE0EEENS1_30default_config_static_selectorELNS0_4arch9wavefront6targetE0EEEvSF_.num_agpr, 0
	.set _ZN7rocprim17ROCPRIM_400000_NS6detail17trampoline_kernelINS0_14default_configENS1_22reduce_config_selectorImEEZNS1_11reduce_implILb1ES3_PmS7_mN6thrust23THRUST_200600_302600_NS4plusImEEEE10hipError_tPvRmT1_T2_T3_mT4_P12ihipStream_tbEUlT_E0_NS1_11comp_targetILNS1_3genE5ELNS1_11target_archE942ELNS1_3gpuE9ELNS1_3repE0EEENS1_30default_config_static_selectorELNS0_4arch9wavefront6targetE0EEEvSF_.numbered_sgpr, 0
	.set _ZN7rocprim17ROCPRIM_400000_NS6detail17trampoline_kernelINS0_14default_configENS1_22reduce_config_selectorImEEZNS1_11reduce_implILb1ES3_PmS7_mN6thrust23THRUST_200600_302600_NS4plusImEEEE10hipError_tPvRmT1_T2_T3_mT4_P12ihipStream_tbEUlT_E0_NS1_11comp_targetILNS1_3genE5ELNS1_11target_archE942ELNS1_3gpuE9ELNS1_3repE0EEENS1_30default_config_static_selectorELNS0_4arch9wavefront6targetE0EEEvSF_.num_named_barrier, 0
	.set _ZN7rocprim17ROCPRIM_400000_NS6detail17trampoline_kernelINS0_14default_configENS1_22reduce_config_selectorImEEZNS1_11reduce_implILb1ES3_PmS7_mN6thrust23THRUST_200600_302600_NS4plusImEEEE10hipError_tPvRmT1_T2_T3_mT4_P12ihipStream_tbEUlT_E0_NS1_11comp_targetILNS1_3genE5ELNS1_11target_archE942ELNS1_3gpuE9ELNS1_3repE0EEENS1_30default_config_static_selectorELNS0_4arch9wavefront6targetE0EEEvSF_.private_seg_size, 0
	.set _ZN7rocprim17ROCPRIM_400000_NS6detail17trampoline_kernelINS0_14default_configENS1_22reduce_config_selectorImEEZNS1_11reduce_implILb1ES3_PmS7_mN6thrust23THRUST_200600_302600_NS4plusImEEEE10hipError_tPvRmT1_T2_T3_mT4_P12ihipStream_tbEUlT_E0_NS1_11comp_targetILNS1_3genE5ELNS1_11target_archE942ELNS1_3gpuE9ELNS1_3repE0EEENS1_30default_config_static_selectorELNS0_4arch9wavefront6targetE0EEEvSF_.uses_vcc, 0
	.set _ZN7rocprim17ROCPRIM_400000_NS6detail17trampoline_kernelINS0_14default_configENS1_22reduce_config_selectorImEEZNS1_11reduce_implILb1ES3_PmS7_mN6thrust23THRUST_200600_302600_NS4plusImEEEE10hipError_tPvRmT1_T2_T3_mT4_P12ihipStream_tbEUlT_E0_NS1_11comp_targetILNS1_3genE5ELNS1_11target_archE942ELNS1_3gpuE9ELNS1_3repE0EEENS1_30default_config_static_selectorELNS0_4arch9wavefront6targetE0EEEvSF_.uses_flat_scratch, 0
	.set _ZN7rocprim17ROCPRIM_400000_NS6detail17trampoline_kernelINS0_14default_configENS1_22reduce_config_selectorImEEZNS1_11reduce_implILb1ES3_PmS7_mN6thrust23THRUST_200600_302600_NS4plusImEEEE10hipError_tPvRmT1_T2_T3_mT4_P12ihipStream_tbEUlT_E0_NS1_11comp_targetILNS1_3genE5ELNS1_11target_archE942ELNS1_3gpuE9ELNS1_3repE0EEENS1_30default_config_static_selectorELNS0_4arch9wavefront6targetE0EEEvSF_.has_dyn_sized_stack, 0
	.set _ZN7rocprim17ROCPRIM_400000_NS6detail17trampoline_kernelINS0_14default_configENS1_22reduce_config_selectorImEEZNS1_11reduce_implILb1ES3_PmS7_mN6thrust23THRUST_200600_302600_NS4plusImEEEE10hipError_tPvRmT1_T2_T3_mT4_P12ihipStream_tbEUlT_E0_NS1_11comp_targetILNS1_3genE5ELNS1_11target_archE942ELNS1_3gpuE9ELNS1_3repE0EEENS1_30default_config_static_selectorELNS0_4arch9wavefront6targetE0EEEvSF_.has_recursion, 0
	.set _ZN7rocprim17ROCPRIM_400000_NS6detail17trampoline_kernelINS0_14default_configENS1_22reduce_config_selectorImEEZNS1_11reduce_implILb1ES3_PmS7_mN6thrust23THRUST_200600_302600_NS4plusImEEEE10hipError_tPvRmT1_T2_T3_mT4_P12ihipStream_tbEUlT_E0_NS1_11comp_targetILNS1_3genE5ELNS1_11target_archE942ELNS1_3gpuE9ELNS1_3repE0EEENS1_30default_config_static_selectorELNS0_4arch9wavefront6targetE0EEEvSF_.has_indirect_call, 0
	.section	.AMDGPU.csdata,"",@progbits
; Kernel info:
; codeLenInByte = 0
; TotalNumSgprs: 0
; NumVgprs: 0
; ScratchSize: 0
; MemoryBound: 0
; FloatMode: 240
; IeeeMode: 1
; LDSByteSize: 0 bytes/workgroup (compile time only)
; SGPRBlocks: 0
; VGPRBlocks: 0
; NumSGPRsForWavesPerEU: 1
; NumVGPRsForWavesPerEU: 1
; Occupancy: 16
; WaveLimiterHint : 0
; COMPUTE_PGM_RSRC2:SCRATCH_EN: 0
; COMPUTE_PGM_RSRC2:USER_SGPR: 6
; COMPUTE_PGM_RSRC2:TRAP_HANDLER: 0
; COMPUTE_PGM_RSRC2:TGID_X_EN: 1
; COMPUTE_PGM_RSRC2:TGID_Y_EN: 0
; COMPUTE_PGM_RSRC2:TGID_Z_EN: 0
; COMPUTE_PGM_RSRC2:TIDIG_COMP_CNT: 0
	.section	.text._ZN7rocprim17ROCPRIM_400000_NS6detail17trampoline_kernelINS0_14default_configENS1_22reduce_config_selectorImEEZNS1_11reduce_implILb1ES3_PmS7_mN6thrust23THRUST_200600_302600_NS4plusImEEEE10hipError_tPvRmT1_T2_T3_mT4_P12ihipStream_tbEUlT_E0_NS1_11comp_targetILNS1_3genE4ELNS1_11target_archE910ELNS1_3gpuE8ELNS1_3repE0EEENS1_30default_config_static_selectorELNS0_4arch9wavefront6targetE0EEEvSF_,"axG",@progbits,_ZN7rocprim17ROCPRIM_400000_NS6detail17trampoline_kernelINS0_14default_configENS1_22reduce_config_selectorImEEZNS1_11reduce_implILb1ES3_PmS7_mN6thrust23THRUST_200600_302600_NS4plusImEEEE10hipError_tPvRmT1_T2_T3_mT4_P12ihipStream_tbEUlT_E0_NS1_11comp_targetILNS1_3genE4ELNS1_11target_archE910ELNS1_3gpuE8ELNS1_3repE0EEENS1_30default_config_static_selectorELNS0_4arch9wavefront6targetE0EEEvSF_,comdat
	.protected	_ZN7rocprim17ROCPRIM_400000_NS6detail17trampoline_kernelINS0_14default_configENS1_22reduce_config_selectorImEEZNS1_11reduce_implILb1ES3_PmS7_mN6thrust23THRUST_200600_302600_NS4plusImEEEE10hipError_tPvRmT1_T2_T3_mT4_P12ihipStream_tbEUlT_E0_NS1_11comp_targetILNS1_3genE4ELNS1_11target_archE910ELNS1_3gpuE8ELNS1_3repE0EEENS1_30default_config_static_selectorELNS0_4arch9wavefront6targetE0EEEvSF_ ; -- Begin function _ZN7rocprim17ROCPRIM_400000_NS6detail17trampoline_kernelINS0_14default_configENS1_22reduce_config_selectorImEEZNS1_11reduce_implILb1ES3_PmS7_mN6thrust23THRUST_200600_302600_NS4plusImEEEE10hipError_tPvRmT1_T2_T3_mT4_P12ihipStream_tbEUlT_E0_NS1_11comp_targetILNS1_3genE4ELNS1_11target_archE910ELNS1_3gpuE8ELNS1_3repE0EEENS1_30default_config_static_selectorELNS0_4arch9wavefront6targetE0EEEvSF_
	.globl	_ZN7rocprim17ROCPRIM_400000_NS6detail17trampoline_kernelINS0_14default_configENS1_22reduce_config_selectorImEEZNS1_11reduce_implILb1ES3_PmS7_mN6thrust23THRUST_200600_302600_NS4plusImEEEE10hipError_tPvRmT1_T2_T3_mT4_P12ihipStream_tbEUlT_E0_NS1_11comp_targetILNS1_3genE4ELNS1_11target_archE910ELNS1_3gpuE8ELNS1_3repE0EEENS1_30default_config_static_selectorELNS0_4arch9wavefront6targetE0EEEvSF_
	.p2align	8
	.type	_ZN7rocprim17ROCPRIM_400000_NS6detail17trampoline_kernelINS0_14default_configENS1_22reduce_config_selectorImEEZNS1_11reduce_implILb1ES3_PmS7_mN6thrust23THRUST_200600_302600_NS4plusImEEEE10hipError_tPvRmT1_T2_T3_mT4_P12ihipStream_tbEUlT_E0_NS1_11comp_targetILNS1_3genE4ELNS1_11target_archE910ELNS1_3gpuE8ELNS1_3repE0EEENS1_30default_config_static_selectorELNS0_4arch9wavefront6targetE0EEEvSF_,@function
_ZN7rocprim17ROCPRIM_400000_NS6detail17trampoline_kernelINS0_14default_configENS1_22reduce_config_selectorImEEZNS1_11reduce_implILb1ES3_PmS7_mN6thrust23THRUST_200600_302600_NS4plusImEEEE10hipError_tPvRmT1_T2_T3_mT4_P12ihipStream_tbEUlT_E0_NS1_11comp_targetILNS1_3genE4ELNS1_11target_archE910ELNS1_3gpuE8ELNS1_3repE0EEENS1_30default_config_static_selectorELNS0_4arch9wavefront6targetE0EEEvSF_: ; @_ZN7rocprim17ROCPRIM_400000_NS6detail17trampoline_kernelINS0_14default_configENS1_22reduce_config_selectorImEEZNS1_11reduce_implILb1ES3_PmS7_mN6thrust23THRUST_200600_302600_NS4plusImEEEE10hipError_tPvRmT1_T2_T3_mT4_P12ihipStream_tbEUlT_E0_NS1_11comp_targetILNS1_3genE4ELNS1_11target_archE910ELNS1_3gpuE8ELNS1_3repE0EEENS1_30default_config_static_selectorELNS0_4arch9wavefront6targetE0EEEvSF_
; %bb.0:
	.section	.rodata,"a",@progbits
	.p2align	6, 0x0
	.amdhsa_kernel _ZN7rocprim17ROCPRIM_400000_NS6detail17trampoline_kernelINS0_14default_configENS1_22reduce_config_selectorImEEZNS1_11reduce_implILb1ES3_PmS7_mN6thrust23THRUST_200600_302600_NS4plusImEEEE10hipError_tPvRmT1_T2_T3_mT4_P12ihipStream_tbEUlT_E0_NS1_11comp_targetILNS1_3genE4ELNS1_11target_archE910ELNS1_3gpuE8ELNS1_3repE0EEENS1_30default_config_static_selectorELNS0_4arch9wavefront6targetE0EEEvSF_
		.amdhsa_group_segment_fixed_size 0
		.amdhsa_private_segment_fixed_size 0
		.amdhsa_kernarg_size 64
		.amdhsa_user_sgpr_count 6
		.amdhsa_user_sgpr_private_segment_buffer 1
		.amdhsa_user_sgpr_dispatch_ptr 0
		.amdhsa_user_sgpr_queue_ptr 0
		.amdhsa_user_sgpr_kernarg_segment_ptr 1
		.amdhsa_user_sgpr_dispatch_id 0
		.amdhsa_user_sgpr_flat_scratch_init 0
		.amdhsa_user_sgpr_private_segment_size 0
		.amdhsa_wavefront_size32 1
		.amdhsa_uses_dynamic_stack 0
		.amdhsa_system_sgpr_private_segment_wavefront_offset 0
		.amdhsa_system_sgpr_workgroup_id_x 1
		.amdhsa_system_sgpr_workgroup_id_y 0
		.amdhsa_system_sgpr_workgroup_id_z 0
		.amdhsa_system_sgpr_workgroup_info 0
		.amdhsa_system_vgpr_workitem_id 0
		.amdhsa_next_free_vgpr 1
		.amdhsa_next_free_sgpr 1
		.amdhsa_reserve_vcc 0
		.amdhsa_reserve_flat_scratch 0
		.amdhsa_float_round_mode_32 0
		.amdhsa_float_round_mode_16_64 0
		.amdhsa_float_denorm_mode_32 3
		.amdhsa_float_denorm_mode_16_64 3
		.amdhsa_dx10_clamp 1
		.amdhsa_ieee_mode 1
		.amdhsa_fp16_overflow 0
		.amdhsa_workgroup_processor_mode 1
		.amdhsa_memory_ordered 1
		.amdhsa_forward_progress 1
		.amdhsa_shared_vgpr_count 0
		.amdhsa_exception_fp_ieee_invalid_op 0
		.amdhsa_exception_fp_denorm_src 0
		.amdhsa_exception_fp_ieee_div_zero 0
		.amdhsa_exception_fp_ieee_overflow 0
		.amdhsa_exception_fp_ieee_underflow 0
		.amdhsa_exception_fp_ieee_inexact 0
		.amdhsa_exception_int_div_zero 0
	.end_amdhsa_kernel
	.section	.text._ZN7rocprim17ROCPRIM_400000_NS6detail17trampoline_kernelINS0_14default_configENS1_22reduce_config_selectorImEEZNS1_11reduce_implILb1ES3_PmS7_mN6thrust23THRUST_200600_302600_NS4plusImEEEE10hipError_tPvRmT1_T2_T3_mT4_P12ihipStream_tbEUlT_E0_NS1_11comp_targetILNS1_3genE4ELNS1_11target_archE910ELNS1_3gpuE8ELNS1_3repE0EEENS1_30default_config_static_selectorELNS0_4arch9wavefront6targetE0EEEvSF_,"axG",@progbits,_ZN7rocprim17ROCPRIM_400000_NS6detail17trampoline_kernelINS0_14default_configENS1_22reduce_config_selectorImEEZNS1_11reduce_implILb1ES3_PmS7_mN6thrust23THRUST_200600_302600_NS4plusImEEEE10hipError_tPvRmT1_T2_T3_mT4_P12ihipStream_tbEUlT_E0_NS1_11comp_targetILNS1_3genE4ELNS1_11target_archE910ELNS1_3gpuE8ELNS1_3repE0EEENS1_30default_config_static_selectorELNS0_4arch9wavefront6targetE0EEEvSF_,comdat
.Lfunc_end22:
	.size	_ZN7rocprim17ROCPRIM_400000_NS6detail17trampoline_kernelINS0_14default_configENS1_22reduce_config_selectorImEEZNS1_11reduce_implILb1ES3_PmS7_mN6thrust23THRUST_200600_302600_NS4plusImEEEE10hipError_tPvRmT1_T2_T3_mT4_P12ihipStream_tbEUlT_E0_NS1_11comp_targetILNS1_3genE4ELNS1_11target_archE910ELNS1_3gpuE8ELNS1_3repE0EEENS1_30default_config_static_selectorELNS0_4arch9wavefront6targetE0EEEvSF_, .Lfunc_end22-_ZN7rocprim17ROCPRIM_400000_NS6detail17trampoline_kernelINS0_14default_configENS1_22reduce_config_selectorImEEZNS1_11reduce_implILb1ES3_PmS7_mN6thrust23THRUST_200600_302600_NS4plusImEEEE10hipError_tPvRmT1_T2_T3_mT4_P12ihipStream_tbEUlT_E0_NS1_11comp_targetILNS1_3genE4ELNS1_11target_archE910ELNS1_3gpuE8ELNS1_3repE0EEENS1_30default_config_static_selectorELNS0_4arch9wavefront6targetE0EEEvSF_
                                        ; -- End function
	.set _ZN7rocprim17ROCPRIM_400000_NS6detail17trampoline_kernelINS0_14default_configENS1_22reduce_config_selectorImEEZNS1_11reduce_implILb1ES3_PmS7_mN6thrust23THRUST_200600_302600_NS4plusImEEEE10hipError_tPvRmT1_T2_T3_mT4_P12ihipStream_tbEUlT_E0_NS1_11comp_targetILNS1_3genE4ELNS1_11target_archE910ELNS1_3gpuE8ELNS1_3repE0EEENS1_30default_config_static_selectorELNS0_4arch9wavefront6targetE0EEEvSF_.num_vgpr, 0
	.set _ZN7rocprim17ROCPRIM_400000_NS6detail17trampoline_kernelINS0_14default_configENS1_22reduce_config_selectorImEEZNS1_11reduce_implILb1ES3_PmS7_mN6thrust23THRUST_200600_302600_NS4plusImEEEE10hipError_tPvRmT1_T2_T3_mT4_P12ihipStream_tbEUlT_E0_NS1_11comp_targetILNS1_3genE4ELNS1_11target_archE910ELNS1_3gpuE8ELNS1_3repE0EEENS1_30default_config_static_selectorELNS0_4arch9wavefront6targetE0EEEvSF_.num_agpr, 0
	.set _ZN7rocprim17ROCPRIM_400000_NS6detail17trampoline_kernelINS0_14default_configENS1_22reduce_config_selectorImEEZNS1_11reduce_implILb1ES3_PmS7_mN6thrust23THRUST_200600_302600_NS4plusImEEEE10hipError_tPvRmT1_T2_T3_mT4_P12ihipStream_tbEUlT_E0_NS1_11comp_targetILNS1_3genE4ELNS1_11target_archE910ELNS1_3gpuE8ELNS1_3repE0EEENS1_30default_config_static_selectorELNS0_4arch9wavefront6targetE0EEEvSF_.numbered_sgpr, 0
	.set _ZN7rocprim17ROCPRIM_400000_NS6detail17trampoline_kernelINS0_14default_configENS1_22reduce_config_selectorImEEZNS1_11reduce_implILb1ES3_PmS7_mN6thrust23THRUST_200600_302600_NS4plusImEEEE10hipError_tPvRmT1_T2_T3_mT4_P12ihipStream_tbEUlT_E0_NS1_11comp_targetILNS1_3genE4ELNS1_11target_archE910ELNS1_3gpuE8ELNS1_3repE0EEENS1_30default_config_static_selectorELNS0_4arch9wavefront6targetE0EEEvSF_.num_named_barrier, 0
	.set _ZN7rocprim17ROCPRIM_400000_NS6detail17trampoline_kernelINS0_14default_configENS1_22reduce_config_selectorImEEZNS1_11reduce_implILb1ES3_PmS7_mN6thrust23THRUST_200600_302600_NS4plusImEEEE10hipError_tPvRmT1_T2_T3_mT4_P12ihipStream_tbEUlT_E0_NS1_11comp_targetILNS1_3genE4ELNS1_11target_archE910ELNS1_3gpuE8ELNS1_3repE0EEENS1_30default_config_static_selectorELNS0_4arch9wavefront6targetE0EEEvSF_.private_seg_size, 0
	.set _ZN7rocprim17ROCPRIM_400000_NS6detail17trampoline_kernelINS0_14default_configENS1_22reduce_config_selectorImEEZNS1_11reduce_implILb1ES3_PmS7_mN6thrust23THRUST_200600_302600_NS4plusImEEEE10hipError_tPvRmT1_T2_T3_mT4_P12ihipStream_tbEUlT_E0_NS1_11comp_targetILNS1_3genE4ELNS1_11target_archE910ELNS1_3gpuE8ELNS1_3repE0EEENS1_30default_config_static_selectorELNS0_4arch9wavefront6targetE0EEEvSF_.uses_vcc, 0
	.set _ZN7rocprim17ROCPRIM_400000_NS6detail17trampoline_kernelINS0_14default_configENS1_22reduce_config_selectorImEEZNS1_11reduce_implILb1ES3_PmS7_mN6thrust23THRUST_200600_302600_NS4plusImEEEE10hipError_tPvRmT1_T2_T3_mT4_P12ihipStream_tbEUlT_E0_NS1_11comp_targetILNS1_3genE4ELNS1_11target_archE910ELNS1_3gpuE8ELNS1_3repE0EEENS1_30default_config_static_selectorELNS0_4arch9wavefront6targetE0EEEvSF_.uses_flat_scratch, 0
	.set _ZN7rocprim17ROCPRIM_400000_NS6detail17trampoline_kernelINS0_14default_configENS1_22reduce_config_selectorImEEZNS1_11reduce_implILb1ES3_PmS7_mN6thrust23THRUST_200600_302600_NS4plusImEEEE10hipError_tPvRmT1_T2_T3_mT4_P12ihipStream_tbEUlT_E0_NS1_11comp_targetILNS1_3genE4ELNS1_11target_archE910ELNS1_3gpuE8ELNS1_3repE0EEENS1_30default_config_static_selectorELNS0_4arch9wavefront6targetE0EEEvSF_.has_dyn_sized_stack, 0
	.set _ZN7rocprim17ROCPRIM_400000_NS6detail17trampoline_kernelINS0_14default_configENS1_22reduce_config_selectorImEEZNS1_11reduce_implILb1ES3_PmS7_mN6thrust23THRUST_200600_302600_NS4plusImEEEE10hipError_tPvRmT1_T2_T3_mT4_P12ihipStream_tbEUlT_E0_NS1_11comp_targetILNS1_3genE4ELNS1_11target_archE910ELNS1_3gpuE8ELNS1_3repE0EEENS1_30default_config_static_selectorELNS0_4arch9wavefront6targetE0EEEvSF_.has_recursion, 0
	.set _ZN7rocprim17ROCPRIM_400000_NS6detail17trampoline_kernelINS0_14default_configENS1_22reduce_config_selectorImEEZNS1_11reduce_implILb1ES3_PmS7_mN6thrust23THRUST_200600_302600_NS4plusImEEEE10hipError_tPvRmT1_T2_T3_mT4_P12ihipStream_tbEUlT_E0_NS1_11comp_targetILNS1_3genE4ELNS1_11target_archE910ELNS1_3gpuE8ELNS1_3repE0EEENS1_30default_config_static_selectorELNS0_4arch9wavefront6targetE0EEEvSF_.has_indirect_call, 0
	.section	.AMDGPU.csdata,"",@progbits
; Kernel info:
; codeLenInByte = 0
; TotalNumSgprs: 0
; NumVgprs: 0
; ScratchSize: 0
; MemoryBound: 0
; FloatMode: 240
; IeeeMode: 1
; LDSByteSize: 0 bytes/workgroup (compile time only)
; SGPRBlocks: 0
; VGPRBlocks: 0
; NumSGPRsForWavesPerEU: 1
; NumVGPRsForWavesPerEU: 1
; Occupancy: 16
; WaveLimiterHint : 0
; COMPUTE_PGM_RSRC2:SCRATCH_EN: 0
; COMPUTE_PGM_RSRC2:USER_SGPR: 6
; COMPUTE_PGM_RSRC2:TRAP_HANDLER: 0
; COMPUTE_PGM_RSRC2:TGID_X_EN: 1
; COMPUTE_PGM_RSRC2:TGID_Y_EN: 0
; COMPUTE_PGM_RSRC2:TGID_Z_EN: 0
; COMPUTE_PGM_RSRC2:TIDIG_COMP_CNT: 0
	.section	.text._ZN7rocprim17ROCPRIM_400000_NS6detail17trampoline_kernelINS0_14default_configENS1_22reduce_config_selectorImEEZNS1_11reduce_implILb1ES3_PmS7_mN6thrust23THRUST_200600_302600_NS4plusImEEEE10hipError_tPvRmT1_T2_T3_mT4_P12ihipStream_tbEUlT_E0_NS1_11comp_targetILNS1_3genE3ELNS1_11target_archE908ELNS1_3gpuE7ELNS1_3repE0EEENS1_30default_config_static_selectorELNS0_4arch9wavefront6targetE0EEEvSF_,"axG",@progbits,_ZN7rocprim17ROCPRIM_400000_NS6detail17trampoline_kernelINS0_14default_configENS1_22reduce_config_selectorImEEZNS1_11reduce_implILb1ES3_PmS7_mN6thrust23THRUST_200600_302600_NS4plusImEEEE10hipError_tPvRmT1_T2_T3_mT4_P12ihipStream_tbEUlT_E0_NS1_11comp_targetILNS1_3genE3ELNS1_11target_archE908ELNS1_3gpuE7ELNS1_3repE0EEENS1_30default_config_static_selectorELNS0_4arch9wavefront6targetE0EEEvSF_,comdat
	.protected	_ZN7rocprim17ROCPRIM_400000_NS6detail17trampoline_kernelINS0_14default_configENS1_22reduce_config_selectorImEEZNS1_11reduce_implILb1ES3_PmS7_mN6thrust23THRUST_200600_302600_NS4plusImEEEE10hipError_tPvRmT1_T2_T3_mT4_P12ihipStream_tbEUlT_E0_NS1_11comp_targetILNS1_3genE3ELNS1_11target_archE908ELNS1_3gpuE7ELNS1_3repE0EEENS1_30default_config_static_selectorELNS0_4arch9wavefront6targetE0EEEvSF_ ; -- Begin function _ZN7rocprim17ROCPRIM_400000_NS6detail17trampoline_kernelINS0_14default_configENS1_22reduce_config_selectorImEEZNS1_11reduce_implILb1ES3_PmS7_mN6thrust23THRUST_200600_302600_NS4plusImEEEE10hipError_tPvRmT1_T2_T3_mT4_P12ihipStream_tbEUlT_E0_NS1_11comp_targetILNS1_3genE3ELNS1_11target_archE908ELNS1_3gpuE7ELNS1_3repE0EEENS1_30default_config_static_selectorELNS0_4arch9wavefront6targetE0EEEvSF_
	.globl	_ZN7rocprim17ROCPRIM_400000_NS6detail17trampoline_kernelINS0_14default_configENS1_22reduce_config_selectorImEEZNS1_11reduce_implILb1ES3_PmS7_mN6thrust23THRUST_200600_302600_NS4plusImEEEE10hipError_tPvRmT1_T2_T3_mT4_P12ihipStream_tbEUlT_E0_NS1_11comp_targetILNS1_3genE3ELNS1_11target_archE908ELNS1_3gpuE7ELNS1_3repE0EEENS1_30default_config_static_selectorELNS0_4arch9wavefront6targetE0EEEvSF_
	.p2align	8
	.type	_ZN7rocprim17ROCPRIM_400000_NS6detail17trampoline_kernelINS0_14default_configENS1_22reduce_config_selectorImEEZNS1_11reduce_implILb1ES3_PmS7_mN6thrust23THRUST_200600_302600_NS4plusImEEEE10hipError_tPvRmT1_T2_T3_mT4_P12ihipStream_tbEUlT_E0_NS1_11comp_targetILNS1_3genE3ELNS1_11target_archE908ELNS1_3gpuE7ELNS1_3repE0EEENS1_30default_config_static_selectorELNS0_4arch9wavefront6targetE0EEEvSF_,@function
_ZN7rocprim17ROCPRIM_400000_NS6detail17trampoline_kernelINS0_14default_configENS1_22reduce_config_selectorImEEZNS1_11reduce_implILb1ES3_PmS7_mN6thrust23THRUST_200600_302600_NS4plusImEEEE10hipError_tPvRmT1_T2_T3_mT4_P12ihipStream_tbEUlT_E0_NS1_11comp_targetILNS1_3genE3ELNS1_11target_archE908ELNS1_3gpuE7ELNS1_3repE0EEENS1_30default_config_static_selectorELNS0_4arch9wavefront6targetE0EEEvSF_: ; @_ZN7rocprim17ROCPRIM_400000_NS6detail17trampoline_kernelINS0_14default_configENS1_22reduce_config_selectorImEEZNS1_11reduce_implILb1ES3_PmS7_mN6thrust23THRUST_200600_302600_NS4plusImEEEE10hipError_tPvRmT1_T2_T3_mT4_P12ihipStream_tbEUlT_E0_NS1_11comp_targetILNS1_3genE3ELNS1_11target_archE908ELNS1_3gpuE7ELNS1_3repE0EEENS1_30default_config_static_selectorELNS0_4arch9wavefront6targetE0EEEvSF_
; %bb.0:
	.section	.rodata,"a",@progbits
	.p2align	6, 0x0
	.amdhsa_kernel _ZN7rocprim17ROCPRIM_400000_NS6detail17trampoline_kernelINS0_14default_configENS1_22reduce_config_selectorImEEZNS1_11reduce_implILb1ES3_PmS7_mN6thrust23THRUST_200600_302600_NS4plusImEEEE10hipError_tPvRmT1_T2_T3_mT4_P12ihipStream_tbEUlT_E0_NS1_11comp_targetILNS1_3genE3ELNS1_11target_archE908ELNS1_3gpuE7ELNS1_3repE0EEENS1_30default_config_static_selectorELNS0_4arch9wavefront6targetE0EEEvSF_
		.amdhsa_group_segment_fixed_size 0
		.amdhsa_private_segment_fixed_size 0
		.amdhsa_kernarg_size 64
		.amdhsa_user_sgpr_count 6
		.amdhsa_user_sgpr_private_segment_buffer 1
		.amdhsa_user_sgpr_dispatch_ptr 0
		.amdhsa_user_sgpr_queue_ptr 0
		.amdhsa_user_sgpr_kernarg_segment_ptr 1
		.amdhsa_user_sgpr_dispatch_id 0
		.amdhsa_user_sgpr_flat_scratch_init 0
		.amdhsa_user_sgpr_private_segment_size 0
		.amdhsa_wavefront_size32 1
		.amdhsa_uses_dynamic_stack 0
		.amdhsa_system_sgpr_private_segment_wavefront_offset 0
		.amdhsa_system_sgpr_workgroup_id_x 1
		.amdhsa_system_sgpr_workgroup_id_y 0
		.amdhsa_system_sgpr_workgroup_id_z 0
		.amdhsa_system_sgpr_workgroup_info 0
		.amdhsa_system_vgpr_workitem_id 0
		.amdhsa_next_free_vgpr 1
		.amdhsa_next_free_sgpr 1
		.amdhsa_reserve_vcc 0
		.amdhsa_reserve_flat_scratch 0
		.amdhsa_float_round_mode_32 0
		.amdhsa_float_round_mode_16_64 0
		.amdhsa_float_denorm_mode_32 3
		.amdhsa_float_denorm_mode_16_64 3
		.amdhsa_dx10_clamp 1
		.amdhsa_ieee_mode 1
		.amdhsa_fp16_overflow 0
		.amdhsa_workgroup_processor_mode 1
		.amdhsa_memory_ordered 1
		.amdhsa_forward_progress 1
		.amdhsa_shared_vgpr_count 0
		.amdhsa_exception_fp_ieee_invalid_op 0
		.amdhsa_exception_fp_denorm_src 0
		.amdhsa_exception_fp_ieee_div_zero 0
		.amdhsa_exception_fp_ieee_overflow 0
		.amdhsa_exception_fp_ieee_underflow 0
		.amdhsa_exception_fp_ieee_inexact 0
		.amdhsa_exception_int_div_zero 0
	.end_amdhsa_kernel
	.section	.text._ZN7rocprim17ROCPRIM_400000_NS6detail17trampoline_kernelINS0_14default_configENS1_22reduce_config_selectorImEEZNS1_11reduce_implILb1ES3_PmS7_mN6thrust23THRUST_200600_302600_NS4plusImEEEE10hipError_tPvRmT1_T2_T3_mT4_P12ihipStream_tbEUlT_E0_NS1_11comp_targetILNS1_3genE3ELNS1_11target_archE908ELNS1_3gpuE7ELNS1_3repE0EEENS1_30default_config_static_selectorELNS0_4arch9wavefront6targetE0EEEvSF_,"axG",@progbits,_ZN7rocprim17ROCPRIM_400000_NS6detail17trampoline_kernelINS0_14default_configENS1_22reduce_config_selectorImEEZNS1_11reduce_implILb1ES3_PmS7_mN6thrust23THRUST_200600_302600_NS4plusImEEEE10hipError_tPvRmT1_T2_T3_mT4_P12ihipStream_tbEUlT_E0_NS1_11comp_targetILNS1_3genE3ELNS1_11target_archE908ELNS1_3gpuE7ELNS1_3repE0EEENS1_30default_config_static_selectorELNS0_4arch9wavefront6targetE0EEEvSF_,comdat
.Lfunc_end23:
	.size	_ZN7rocprim17ROCPRIM_400000_NS6detail17trampoline_kernelINS0_14default_configENS1_22reduce_config_selectorImEEZNS1_11reduce_implILb1ES3_PmS7_mN6thrust23THRUST_200600_302600_NS4plusImEEEE10hipError_tPvRmT1_T2_T3_mT4_P12ihipStream_tbEUlT_E0_NS1_11comp_targetILNS1_3genE3ELNS1_11target_archE908ELNS1_3gpuE7ELNS1_3repE0EEENS1_30default_config_static_selectorELNS0_4arch9wavefront6targetE0EEEvSF_, .Lfunc_end23-_ZN7rocprim17ROCPRIM_400000_NS6detail17trampoline_kernelINS0_14default_configENS1_22reduce_config_selectorImEEZNS1_11reduce_implILb1ES3_PmS7_mN6thrust23THRUST_200600_302600_NS4plusImEEEE10hipError_tPvRmT1_T2_T3_mT4_P12ihipStream_tbEUlT_E0_NS1_11comp_targetILNS1_3genE3ELNS1_11target_archE908ELNS1_3gpuE7ELNS1_3repE0EEENS1_30default_config_static_selectorELNS0_4arch9wavefront6targetE0EEEvSF_
                                        ; -- End function
	.set _ZN7rocprim17ROCPRIM_400000_NS6detail17trampoline_kernelINS0_14default_configENS1_22reduce_config_selectorImEEZNS1_11reduce_implILb1ES3_PmS7_mN6thrust23THRUST_200600_302600_NS4plusImEEEE10hipError_tPvRmT1_T2_T3_mT4_P12ihipStream_tbEUlT_E0_NS1_11comp_targetILNS1_3genE3ELNS1_11target_archE908ELNS1_3gpuE7ELNS1_3repE0EEENS1_30default_config_static_selectorELNS0_4arch9wavefront6targetE0EEEvSF_.num_vgpr, 0
	.set _ZN7rocprim17ROCPRIM_400000_NS6detail17trampoline_kernelINS0_14default_configENS1_22reduce_config_selectorImEEZNS1_11reduce_implILb1ES3_PmS7_mN6thrust23THRUST_200600_302600_NS4plusImEEEE10hipError_tPvRmT1_T2_T3_mT4_P12ihipStream_tbEUlT_E0_NS1_11comp_targetILNS1_3genE3ELNS1_11target_archE908ELNS1_3gpuE7ELNS1_3repE0EEENS1_30default_config_static_selectorELNS0_4arch9wavefront6targetE0EEEvSF_.num_agpr, 0
	.set _ZN7rocprim17ROCPRIM_400000_NS6detail17trampoline_kernelINS0_14default_configENS1_22reduce_config_selectorImEEZNS1_11reduce_implILb1ES3_PmS7_mN6thrust23THRUST_200600_302600_NS4plusImEEEE10hipError_tPvRmT1_T2_T3_mT4_P12ihipStream_tbEUlT_E0_NS1_11comp_targetILNS1_3genE3ELNS1_11target_archE908ELNS1_3gpuE7ELNS1_3repE0EEENS1_30default_config_static_selectorELNS0_4arch9wavefront6targetE0EEEvSF_.numbered_sgpr, 0
	.set _ZN7rocprim17ROCPRIM_400000_NS6detail17trampoline_kernelINS0_14default_configENS1_22reduce_config_selectorImEEZNS1_11reduce_implILb1ES3_PmS7_mN6thrust23THRUST_200600_302600_NS4plusImEEEE10hipError_tPvRmT1_T2_T3_mT4_P12ihipStream_tbEUlT_E0_NS1_11comp_targetILNS1_3genE3ELNS1_11target_archE908ELNS1_3gpuE7ELNS1_3repE0EEENS1_30default_config_static_selectorELNS0_4arch9wavefront6targetE0EEEvSF_.num_named_barrier, 0
	.set _ZN7rocprim17ROCPRIM_400000_NS6detail17trampoline_kernelINS0_14default_configENS1_22reduce_config_selectorImEEZNS1_11reduce_implILb1ES3_PmS7_mN6thrust23THRUST_200600_302600_NS4plusImEEEE10hipError_tPvRmT1_T2_T3_mT4_P12ihipStream_tbEUlT_E0_NS1_11comp_targetILNS1_3genE3ELNS1_11target_archE908ELNS1_3gpuE7ELNS1_3repE0EEENS1_30default_config_static_selectorELNS0_4arch9wavefront6targetE0EEEvSF_.private_seg_size, 0
	.set _ZN7rocprim17ROCPRIM_400000_NS6detail17trampoline_kernelINS0_14default_configENS1_22reduce_config_selectorImEEZNS1_11reduce_implILb1ES3_PmS7_mN6thrust23THRUST_200600_302600_NS4plusImEEEE10hipError_tPvRmT1_T2_T3_mT4_P12ihipStream_tbEUlT_E0_NS1_11comp_targetILNS1_3genE3ELNS1_11target_archE908ELNS1_3gpuE7ELNS1_3repE0EEENS1_30default_config_static_selectorELNS0_4arch9wavefront6targetE0EEEvSF_.uses_vcc, 0
	.set _ZN7rocprim17ROCPRIM_400000_NS6detail17trampoline_kernelINS0_14default_configENS1_22reduce_config_selectorImEEZNS1_11reduce_implILb1ES3_PmS7_mN6thrust23THRUST_200600_302600_NS4plusImEEEE10hipError_tPvRmT1_T2_T3_mT4_P12ihipStream_tbEUlT_E0_NS1_11comp_targetILNS1_3genE3ELNS1_11target_archE908ELNS1_3gpuE7ELNS1_3repE0EEENS1_30default_config_static_selectorELNS0_4arch9wavefront6targetE0EEEvSF_.uses_flat_scratch, 0
	.set _ZN7rocprim17ROCPRIM_400000_NS6detail17trampoline_kernelINS0_14default_configENS1_22reduce_config_selectorImEEZNS1_11reduce_implILb1ES3_PmS7_mN6thrust23THRUST_200600_302600_NS4plusImEEEE10hipError_tPvRmT1_T2_T3_mT4_P12ihipStream_tbEUlT_E0_NS1_11comp_targetILNS1_3genE3ELNS1_11target_archE908ELNS1_3gpuE7ELNS1_3repE0EEENS1_30default_config_static_selectorELNS0_4arch9wavefront6targetE0EEEvSF_.has_dyn_sized_stack, 0
	.set _ZN7rocprim17ROCPRIM_400000_NS6detail17trampoline_kernelINS0_14default_configENS1_22reduce_config_selectorImEEZNS1_11reduce_implILb1ES3_PmS7_mN6thrust23THRUST_200600_302600_NS4plusImEEEE10hipError_tPvRmT1_T2_T3_mT4_P12ihipStream_tbEUlT_E0_NS1_11comp_targetILNS1_3genE3ELNS1_11target_archE908ELNS1_3gpuE7ELNS1_3repE0EEENS1_30default_config_static_selectorELNS0_4arch9wavefront6targetE0EEEvSF_.has_recursion, 0
	.set _ZN7rocprim17ROCPRIM_400000_NS6detail17trampoline_kernelINS0_14default_configENS1_22reduce_config_selectorImEEZNS1_11reduce_implILb1ES3_PmS7_mN6thrust23THRUST_200600_302600_NS4plusImEEEE10hipError_tPvRmT1_T2_T3_mT4_P12ihipStream_tbEUlT_E0_NS1_11comp_targetILNS1_3genE3ELNS1_11target_archE908ELNS1_3gpuE7ELNS1_3repE0EEENS1_30default_config_static_selectorELNS0_4arch9wavefront6targetE0EEEvSF_.has_indirect_call, 0
	.section	.AMDGPU.csdata,"",@progbits
; Kernel info:
; codeLenInByte = 0
; TotalNumSgprs: 0
; NumVgprs: 0
; ScratchSize: 0
; MemoryBound: 0
; FloatMode: 240
; IeeeMode: 1
; LDSByteSize: 0 bytes/workgroup (compile time only)
; SGPRBlocks: 0
; VGPRBlocks: 0
; NumSGPRsForWavesPerEU: 1
; NumVGPRsForWavesPerEU: 1
; Occupancy: 16
; WaveLimiterHint : 0
; COMPUTE_PGM_RSRC2:SCRATCH_EN: 0
; COMPUTE_PGM_RSRC2:USER_SGPR: 6
; COMPUTE_PGM_RSRC2:TRAP_HANDLER: 0
; COMPUTE_PGM_RSRC2:TGID_X_EN: 1
; COMPUTE_PGM_RSRC2:TGID_Y_EN: 0
; COMPUTE_PGM_RSRC2:TGID_Z_EN: 0
; COMPUTE_PGM_RSRC2:TIDIG_COMP_CNT: 0
	.section	.text._ZN7rocprim17ROCPRIM_400000_NS6detail17trampoline_kernelINS0_14default_configENS1_22reduce_config_selectorImEEZNS1_11reduce_implILb1ES3_PmS7_mN6thrust23THRUST_200600_302600_NS4plusImEEEE10hipError_tPvRmT1_T2_T3_mT4_P12ihipStream_tbEUlT_E0_NS1_11comp_targetILNS1_3genE2ELNS1_11target_archE906ELNS1_3gpuE6ELNS1_3repE0EEENS1_30default_config_static_selectorELNS0_4arch9wavefront6targetE0EEEvSF_,"axG",@progbits,_ZN7rocprim17ROCPRIM_400000_NS6detail17trampoline_kernelINS0_14default_configENS1_22reduce_config_selectorImEEZNS1_11reduce_implILb1ES3_PmS7_mN6thrust23THRUST_200600_302600_NS4plusImEEEE10hipError_tPvRmT1_T2_T3_mT4_P12ihipStream_tbEUlT_E0_NS1_11comp_targetILNS1_3genE2ELNS1_11target_archE906ELNS1_3gpuE6ELNS1_3repE0EEENS1_30default_config_static_selectorELNS0_4arch9wavefront6targetE0EEEvSF_,comdat
	.protected	_ZN7rocprim17ROCPRIM_400000_NS6detail17trampoline_kernelINS0_14default_configENS1_22reduce_config_selectorImEEZNS1_11reduce_implILb1ES3_PmS7_mN6thrust23THRUST_200600_302600_NS4plusImEEEE10hipError_tPvRmT1_T2_T3_mT4_P12ihipStream_tbEUlT_E0_NS1_11comp_targetILNS1_3genE2ELNS1_11target_archE906ELNS1_3gpuE6ELNS1_3repE0EEENS1_30default_config_static_selectorELNS0_4arch9wavefront6targetE0EEEvSF_ ; -- Begin function _ZN7rocprim17ROCPRIM_400000_NS6detail17trampoline_kernelINS0_14default_configENS1_22reduce_config_selectorImEEZNS1_11reduce_implILb1ES3_PmS7_mN6thrust23THRUST_200600_302600_NS4plusImEEEE10hipError_tPvRmT1_T2_T3_mT4_P12ihipStream_tbEUlT_E0_NS1_11comp_targetILNS1_3genE2ELNS1_11target_archE906ELNS1_3gpuE6ELNS1_3repE0EEENS1_30default_config_static_selectorELNS0_4arch9wavefront6targetE0EEEvSF_
	.globl	_ZN7rocprim17ROCPRIM_400000_NS6detail17trampoline_kernelINS0_14default_configENS1_22reduce_config_selectorImEEZNS1_11reduce_implILb1ES3_PmS7_mN6thrust23THRUST_200600_302600_NS4plusImEEEE10hipError_tPvRmT1_T2_T3_mT4_P12ihipStream_tbEUlT_E0_NS1_11comp_targetILNS1_3genE2ELNS1_11target_archE906ELNS1_3gpuE6ELNS1_3repE0EEENS1_30default_config_static_selectorELNS0_4arch9wavefront6targetE0EEEvSF_
	.p2align	8
	.type	_ZN7rocprim17ROCPRIM_400000_NS6detail17trampoline_kernelINS0_14default_configENS1_22reduce_config_selectorImEEZNS1_11reduce_implILb1ES3_PmS7_mN6thrust23THRUST_200600_302600_NS4plusImEEEE10hipError_tPvRmT1_T2_T3_mT4_P12ihipStream_tbEUlT_E0_NS1_11comp_targetILNS1_3genE2ELNS1_11target_archE906ELNS1_3gpuE6ELNS1_3repE0EEENS1_30default_config_static_selectorELNS0_4arch9wavefront6targetE0EEEvSF_,@function
_ZN7rocprim17ROCPRIM_400000_NS6detail17trampoline_kernelINS0_14default_configENS1_22reduce_config_selectorImEEZNS1_11reduce_implILb1ES3_PmS7_mN6thrust23THRUST_200600_302600_NS4plusImEEEE10hipError_tPvRmT1_T2_T3_mT4_P12ihipStream_tbEUlT_E0_NS1_11comp_targetILNS1_3genE2ELNS1_11target_archE906ELNS1_3gpuE6ELNS1_3repE0EEENS1_30default_config_static_selectorELNS0_4arch9wavefront6targetE0EEEvSF_: ; @_ZN7rocprim17ROCPRIM_400000_NS6detail17trampoline_kernelINS0_14default_configENS1_22reduce_config_selectorImEEZNS1_11reduce_implILb1ES3_PmS7_mN6thrust23THRUST_200600_302600_NS4plusImEEEE10hipError_tPvRmT1_T2_T3_mT4_P12ihipStream_tbEUlT_E0_NS1_11comp_targetILNS1_3genE2ELNS1_11target_archE906ELNS1_3gpuE6ELNS1_3repE0EEENS1_30default_config_static_selectorELNS0_4arch9wavefront6targetE0EEEvSF_
; %bb.0:
	.section	.rodata,"a",@progbits
	.p2align	6, 0x0
	.amdhsa_kernel _ZN7rocprim17ROCPRIM_400000_NS6detail17trampoline_kernelINS0_14default_configENS1_22reduce_config_selectorImEEZNS1_11reduce_implILb1ES3_PmS7_mN6thrust23THRUST_200600_302600_NS4plusImEEEE10hipError_tPvRmT1_T2_T3_mT4_P12ihipStream_tbEUlT_E0_NS1_11comp_targetILNS1_3genE2ELNS1_11target_archE906ELNS1_3gpuE6ELNS1_3repE0EEENS1_30default_config_static_selectorELNS0_4arch9wavefront6targetE0EEEvSF_
		.amdhsa_group_segment_fixed_size 0
		.amdhsa_private_segment_fixed_size 0
		.amdhsa_kernarg_size 64
		.amdhsa_user_sgpr_count 6
		.amdhsa_user_sgpr_private_segment_buffer 1
		.amdhsa_user_sgpr_dispatch_ptr 0
		.amdhsa_user_sgpr_queue_ptr 0
		.amdhsa_user_sgpr_kernarg_segment_ptr 1
		.amdhsa_user_sgpr_dispatch_id 0
		.amdhsa_user_sgpr_flat_scratch_init 0
		.amdhsa_user_sgpr_private_segment_size 0
		.amdhsa_wavefront_size32 1
		.amdhsa_uses_dynamic_stack 0
		.amdhsa_system_sgpr_private_segment_wavefront_offset 0
		.amdhsa_system_sgpr_workgroup_id_x 1
		.amdhsa_system_sgpr_workgroup_id_y 0
		.amdhsa_system_sgpr_workgroup_id_z 0
		.amdhsa_system_sgpr_workgroup_info 0
		.amdhsa_system_vgpr_workitem_id 0
		.amdhsa_next_free_vgpr 1
		.amdhsa_next_free_sgpr 1
		.amdhsa_reserve_vcc 0
		.amdhsa_reserve_flat_scratch 0
		.amdhsa_float_round_mode_32 0
		.amdhsa_float_round_mode_16_64 0
		.amdhsa_float_denorm_mode_32 3
		.amdhsa_float_denorm_mode_16_64 3
		.amdhsa_dx10_clamp 1
		.amdhsa_ieee_mode 1
		.amdhsa_fp16_overflow 0
		.amdhsa_workgroup_processor_mode 1
		.amdhsa_memory_ordered 1
		.amdhsa_forward_progress 1
		.amdhsa_shared_vgpr_count 0
		.amdhsa_exception_fp_ieee_invalid_op 0
		.amdhsa_exception_fp_denorm_src 0
		.amdhsa_exception_fp_ieee_div_zero 0
		.amdhsa_exception_fp_ieee_overflow 0
		.amdhsa_exception_fp_ieee_underflow 0
		.amdhsa_exception_fp_ieee_inexact 0
		.amdhsa_exception_int_div_zero 0
	.end_amdhsa_kernel
	.section	.text._ZN7rocprim17ROCPRIM_400000_NS6detail17trampoline_kernelINS0_14default_configENS1_22reduce_config_selectorImEEZNS1_11reduce_implILb1ES3_PmS7_mN6thrust23THRUST_200600_302600_NS4plusImEEEE10hipError_tPvRmT1_T2_T3_mT4_P12ihipStream_tbEUlT_E0_NS1_11comp_targetILNS1_3genE2ELNS1_11target_archE906ELNS1_3gpuE6ELNS1_3repE0EEENS1_30default_config_static_selectorELNS0_4arch9wavefront6targetE0EEEvSF_,"axG",@progbits,_ZN7rocprim17ROCPRIM_400000_NS6detail17trampoline_kernelINS0_14default_configENS1_22reduce_config_selectorImEEZNS1_11reduce_implILb1ES3_PmS7_mN6thrust23THRUST_200600_302600_NS4plusImEEEE10hipError_tPvRmT1_T2_T3_mT4_P12ihipStream_tbEUlT_E0_NS1_11comp_targetILNS1_3genE2ELNS1_11target_archE906ELNS1_3gpuE6ELNS1_3repE0EEENS1_30default_config_static_selectorELNS0_4arch9wavefront6targetE0EEEvSF_,comdat
.Lfunc_end24:
	.size	_ZN7rocprim17ROCPRIM_400000_NS6detail17trampoline_kernelINS0_14default_configENS1_22reduce_config_selectorImEEZNS1_11reduce_implILb1ES3_PmS7_mN6thrust23THRUST_200600_302600_NS4plusImEEEE10hipError_tPvRmT1_T2_T3_mT4_P12ihipStream_tbEUlT_E0_NS1_11comp_targetILNS1_3genE2ELNS1_11target_archE906ELNS1_3gpuE6ELNS1_3repE0EEENS1_30default_config_static_selectorELNS0_4arch9wavefront6targetE0EEEvSF_, .Lfunc_end24-_ZN7rocprim17ROCPRIM_400000_NS6detail17trampoline_kernelINS0_14default_configENS1_22reduce_config_selectorImEEZNS1_11reduce_implILb1ES3_PmS7_mN6thrust23THRUST_200600_302600_NS4plusImEEEE10hipError_tPvRmT1_T2_T3_mT4_P12ihipStream_tbEUlT_E0_NS1_11comp_targetILNS1_3genE2ELNS1_11target_archE906ELNS1_3gpuE6ELNS1_3repE0EEENS1_30default_config_static_selectorELNS0_4arch9wavefront6targetE0EEEvSF_
                                        ; -- End function
	.set _ZN7rocprim17ROCPRIM_400000_NS6detail17trampoline_kernelINS0_14default_configENS1_22reduce_config_selectorImEEZNS1_11reduce_implILb1ES3_PmS7_mN6thrust23THRUST_200600_302600_NS4plusImEEEE10hipError_tPvRmT1_T2_T3_mT4_P12ihipStream_tbEUlT_E0_NS1_11comp_targetILNS1_3genE2ELNS1_11target_archE906ELNS1_3gpuE6ELNS1_3repE0EEENS1_30default_config_static_selectorELNS0_4arch9wavefront6targetE0EEEvSF_.num_vgpr, 0
	.set _ZN7rocprim17ROCPRIM_400000_NS6detail17trampoline_kernelINS0_14default_configENS1_22reduce_config_selectorImEEZNS1_11reduce_implILb1ES3_PmS7_mN6thrust23THRUST_200600_302600_NS4plusImEEEE10hipError_tPvRmT1_T2_T3_mT4_P12ihipStream_tbEUlT_E0_NS1_11comp_targetILNS1_3genE2ELNS1_11target_archE906ELNS1_3gpuE6ELNS1_3repE0EEENS1_30default_config_static_selectorELNS0_4arch9wavefront6targetE0EEEvSF_.num_agpr, 0
	.set _ZN7rocprim17ROCPRIM_400000_NS6detail17trampoline_kernelINS0_14default_configENS1_22reduce_config_selectorImEEZNS1_11reduce_implILb1ES3_PmS7_mN6thrust23THRUST_200600_302600_NS4plusImEEEE10hipError_tPvRmT1_T2_T3_mT4_P12ihipStream_tbEUlT_E0_NS1_11comp_targetILNS1_3genE2ELNS1_11target_archE906ELNS1_3gpuE6ELNS1_3repE0EEENS1_30default_config_static_selectorELNS0_4arch9wavefront6targetE0EEEvSF_.numbered_sgpr, 0
	.set _ZN7rocprim17ROCPRIM_400000_NS6detail17trampoline_kernelINS0_14default_configENS1_22reduce_config_selectorImEEZNS1_11reduce_implILb1ES3_PmS7_mN6thrust23THRUST_200600_302600_NS4plusImEEEE10hipError_tPvRmT1_T2_T3_mT4_P12ihipStream_tbEUlT_E0_NS1_11comp_targetILNS1_3genE2ELNS1_11target_archE906ELNS1_3gpuE6ELNS1_3repE0EEENS1_30default_config_static_selectorELNS0_4arch9wavefront6targetE0EEEvSF_.num_named_barrier, 0
	.set _ZN7rocprim17ROCPRIM_400000_NS6detail17trampoline_kernelINS0_14default_configENS1_22reduce_config_selectorImEEZNS1_11reduce_implILb1ES3_PmS7_mN6thrust23THRUST_200600_302600_NS4plusImEEEE10hipError_tPvRmT1_T2_T3_mT4_P12ihipStream_tbEUlT_E0_NS1_11comp_targetILNS1_3genE2ELNS1_11target_archE906ELNS1_3gpuE6ELNS1_3repE0EEENS1_30default_config_static_selectorELNS0_4arch9wavefront6targetE0EEEvSF_.private_seg_size, 0
	.set _ZN7rocprim17ROCPRIM_400000_NS6detail17trampoline_kernelINS0_14default_configENS1_22reduce_config_selectorImEEZNS1_11reduce_implILb1ES3_PmS7_mN6thrust23THRUST_200600_302600_NS4plusImEEEE10hipError_tPvRmT1_T2_T3_mT4_P12ihipStream_tbEUlT_E0_NS1_11comp_targetILNS1_3genE2ELNS1_11target_archE906ELNS1_3gpuE6ELNS1_3repE0EEENS1_30default_config_static_selectorELNS0_4arch9wavefront6targetE0EEEvSF_.uses_vcc, 0
	.set _ZN7rocprim17ROCPRIM_400000_NS6detail17trampoline_kernelINS0_14default_configENS1_22reduce_config_selectorImEEZNS1_11reduce_implILb1ES3_PmS7_mN6thrust23THRUST_200600_302600_NS4plusImEEEE10hipError_tPvRmT1_T2_T3_mT4_P12ihipStream_tbEUlT_E0_NS1_11comp_targetILNS1_3genE2ELNS1_11target_archE906ELNS1_3gpuE6ELNS1_3repE0EEENS1_30default_config_static_selectorELNS0_4arch9wavefront6targetE0EEEvSF_.uses_flat_scratch, 0
	.set _ZN7rocprim17ROCPRIM_400000_NS6detail17trampoline_kernelINS0_14default_configENS1_22reduce_config_selectorImEEZNS1_11reduce_implILb1ES3_PmS7_mN6thrust23THRUST_200600_302600_NS4plusImEEEE10hipError_tPvRmT1_T2_T3_mT4_P12ihipStream_tbEUlT_E0_NS1_11comp_targetILNS1_3genE2ELNS1_11target_archE906ELNS1_3gpuE6ELNS1_3repE0EEENS1_30default_config_static_selectorELNS0_4arch9wavefront6targetE0EEEvSF_.has_dyn_sized_stack, 0
	.set _ZN7rocprim17ROCPRIM_400000_NS6detail17trampoline_kernelINS0_14default_configENS1_22reduce_config_selectorImEEZNS1_11reduce_implILb1ES3_PmS7_mN6thrust23THRUST_200600_302600_NS4plusImEEEE10hipError_tPvRmT1_T2_T3_mT4_P12ihipStream_tbEUlT_E0_NS1_11comp_targetILNS1_3genE2ELNS1_11target_archE906ELNS1_3gpuE6ELNS1_3repE0EEENS1_30default_config_static_selectorELNS0_4arch9wavefront6targetE0EEEvSF_.has_recursion, 0
	.set _ZN7rocprim17ROCPRIM_400000_NS6detail17trampoline_kernelINS0_14default_configENS1_22reduce_config_selectorImEEZNS1_11reduce_implILb1ES3_PmS7_mN6thrust23THRUST_200600_302600_NS4plusImEEEE10hipError_tPvRmT1_T2_T3_mT4_P12ihipStream_tbEUlT_E0_NS1_11comp_targetILNS1_3genE2ELNS1_11target_archE906ELNS1_3gpuE6ELNS1_3repE0EEENS1_30default_config_static_selectorELNS0_4arch9wavefront6targetE0EEEvSF_.has_indirect_call, 0
	.section	.AMDGPU.csdata,"",@progbits
; Kernel info:
; codeLenInByte = 0
; TotalNumSgprs: 0
; NumVgprs: 0
; ScratchSize: 0
; MemoryBound: 0
; FloatMode: 240
; IeeeMode: 1
; LDSByteSize: 0 bytes/workgroup (compile time only)
; SGPRBlocks: 0
; VGPRBlocks: 0
; NumSGPRsForWavesPerEU: 1
; NumVGPRsForWavesPerEU: 1
; Occupancy: 16
; WaveLimiterHint : 0
; COMPUTE_PGM_RSRC2:SCRATCH_EN: 0
; COMPUTE_PGM_RSRC2:USER_SGPR: 6
; COMPUTE_PGM_RSRC2:TRAP_HANDLER: 0
; COMPUTE_PGM_RSRC2:TGID_X_EN: 1
; COMPUTE_PGM_RSRC2:TGID_Y_EN: 0
; COMPUTE_PGM_RSRC2:TGID_Z_EN: 0
; COMPUTE_PGM_RSRC2:TIDIG_COMP_CNT: 0
	.section	.text._ZN7rocprim17ROCPRIM_400000_NS6detail17trampoline_kernelINS0_14default_configENS1_22reduce_config_selectorImEEZNS1_11reduce_implILb1ES3_PmS7_mN6thrust23THRUST_200600_302600_NS4plusImEEEE10hipError_tPvRmT1_T2_T3_mT4_P12ihipStream_tbEUlT_E0_NS1_11comp_targetILNS1_3genE10ELNS1_11target_archE1201ELNS1_3gpuE5ELNS1_3repE0EEENS1_30default_config_static_selectorELNS0_4arch9wavefront6targetE0EEEvSF_,"axG",@progbits,_ZN7rocprim17ROCPRIM_400000_NS6detail17trampoline_kernelINS0_14default_configENS1_22reduce_config_selectorImEEZNS1_11reduce_implILb1ES3_PmS7_mN6thrust23THRUST_200600_302600_NS4plusImEEEE10hipError_tPvRmT1_T2_T3_mT4_P12ihipStream_tbEUlT_E0_NS1_11comp_targetILNS1_3genE10ELNS1_11target_archE1201ELNS1_3gpuE5ELNS1_3repE0EEENS1_30default_config_static_selectorELNS0_4arch9wavefront6targetE0EEEvSF_,comdat
	.protected	_ZN7rocprim17ROCPRIM_400000_NS6detail17trampoline_kernelINS0_14default_configENS1_22reduce_config_selectorImEEZNS1_11reduce_implILb1ES3_PmS7_mN6thrust23THRUST_200600_302600_NS4plusImEEEE10hipError_tPvRmT1_T2_T3_mT4_P12ihipStream_tbEUlT_E0_NS1_11comp_targetILNS1_3genE10ELNS1_11target_archE1201ELNS1_3gpuE5ELNS1_3repE0EEENS1_30default_config_static_selectorELNS0_4arch9wavefront6targetE0EEEvSF_ ; -- Begin function _ZN7rocprim17ROCPRIM_400000_NS6detail17trampoline_kernelINS0_14default_configENS1_22reduce_config_selectorImEEZNS1_11reduce_implILb1ES3_PmS7_mN6thrust23THRUST_200600_302600_NS4plusImEEEE10hipError_tPvRmT1_T2_T3_mT4_P12ihipStream_tbEUlT_E0_NS1_11comp_targetILNS1_3genE10ELNS1_11target_archE1201ELNS1_3gpuE5ELNS1_3repE0EEENS1_30default_config_static_selectorELNS0_4arch9wavefront6targetE0EEEvSF_
	.globl	_ZN7rocprim17ROCPRIM_400000_NS6detail17trampoline_kernelINS0_14default_configENS1_22reduce_config_selectorImEEZNS1_11reduce_implILb1ES3_PmS7_mN6thrust23THRUST_200600_302600_NS4plusImEEEE10hipError_tPvRmT1_T2_T3_mT4_P12ihipStream_tbEUlT_E0_NS1_11comp_targetILNS1_3genE10ELNS1_11target_archE1201ELNS1_3gpuE5ELNS1_3repE0EEENS1_30default_config_static_selectorELNS0_4arch9wavefront6targetE0EEEvSF_
	.p2align	8
	.type	_ZN7rocprim17ROCPRIM_400000_NS6detail17trampoline_kernelINS0_14default_configENS1_22reduce_config_selectorImEEZNS1_11reduce_implILb1ES3_PmS7_mN6thrust23THRUST_200600_302600_NS4plusImEEEE10hipError_tPvRmT1_T2_T3_mT4_P12ihipStream_tbEUlT_E0_NS1_11comp_targetILNS1_3genE10ELNS1_11target_archE1201ELNS1_3gpuE5ELNS1_3repE0EEENS1_30default_config_static_selectorELNS0_4arch9wavefront6targetE0EEEvSF_,@function
_ZN7rocprim17ROCPRIM_400000_NS6detail17trampoline_kernelINS0_14default_configENS1_22reduce_config_selectorImEEZNS1_11reduce_implILb1ES3_PmS7_mN6thrust23THRUST_200600_302600_NS4plusImEEEE10hipError_tPvRmT1_T2_T3_mT4_P12ihipStream_tbEUlT_E0_NS1_11comp_targetILNS1_3genE10ELNS1_11target_archE1201ELNS1_3gpuE5ELNS1_3repE0EEENS1_30default_config_static_selectorELNS0_4arch9wavefront6targetE0EEEvSF_: ; @_ZN7rocprim17ROCPRIM_400000_NS6detail17trampoline_kernelINS0_14default_configENS1_22reduce_config_selectorImEEZNS1_11reduce_implILb1ES3_PmS7_mN6thrust23THRUST_200600_302600_NS4plusImEEEE10hipError_tPvRmT1_T2_T3_mT4_P12ihipStream_tbEUlT_E0_NS1_11comp_targetILNS1_3genE10ELNS1_11target_archE1201ELNS1_3gpuE5ELNS1_3repE0EEENS1_30default_config_static_selectorELNS0_4arch9wavefront6targetE0EEEvSF_
; %bb.0:
	.section	.rodata,"a",@progbits
	.p2align	6, 0x0
	.amdhsa_kernel _ZN7rocprim17ROCPRIM_400000_NS6detail17trampoline_kernelINS0_14default_configENS1_22reduce_config_selectorImEEZNS1_11reduce_implILb1ES3_PmS7_mN6thrust23THRUST_200600_302600_NS4plusImEEEE10hipError_tPvRmT1_T2_T3_mT4_P12ihipStream_tbEUlT_E0_NS1_11comp_targetILNS1_3genE10ELNS1_11target_archE1201ELNS1_3gpuE5ELNS1_3repE0EEENS1_30default_config_static_selectorELNS0_4arch9wavefront6targetE0EEEvSF_
		.amdhsa_group_segment_fixed_size 0
		.amdhsa_private_segment_fixed_size 0
		.amdhsa_kernarg_size 64
		.amdhsa_user_sgpr_count 6
		.amdhsa_user_sgpr_private_segment_buffer 1
		.amdhsa_user_sgpr_dispatch_ptr 0
		.amdhsa_user_sgpr_queue_ptr 0
		.amdhsa_user_sgpr_kernarg_segment_ptr 1
		.amdhsa_user_sgpr_dispatch_id 0
		.amdhsa_user_sgpr_flat_scratch_init 0
		.amdhsa_user_sgpr_private_segment_size 0
		.amdhsa_wavefront_size32 1
		.amdhsa_uses_dynamic_stack 0
		.amdhsa_system_sgpr_private_segment_wavefront_offset 0
		.amdhsa_system_sgpr_workgroup_id_x 1
		.amdhsa_system_sgpr_workgroup_id_y 0
		.amdhsa_system_sgpr_workgroup_id_z 0
		.amdhsa_system_sgpr_workgroup_info 0
		.amdhsa_system_vgpr_workitem_id 0
		.amdhsa_next_free_vgpr 1
		.amdhsa_next_free_sgpr 1
		.amdhsa_reserve_vcc 0
		.amdhsa_reserve_flat_scratch 0
		.amdhsa_float_round_mode_32 0
		.amdhsa_float_round_mode_16_64 0
		.amdhsa_float_denorm_mode_32 3
		.amdhsa_float_denorm_mode_16_64 3
		.amdhsa_dx10_clamp 1
		.amdhsa_ieee_mode 1
		.amdhsa_fp16_overflow 0
		.amdhsa_workgroup_processor_mode 1
		.amdhsa_memory_ordered 1
		.amdhsa_forward_progress 1
		.amdhsa_shared_vgpr_count 0
		.amdhsa_exception_fp_ieee_invalid_op 0
		.amdhsa_exception_fp_denorm_src 0
		.amdhsa_exception_fp_ieee_div_zero 0
		.amdhsa_exception_fp_ieee_overflow 0
		.amdhsa_exception_fp_ieee_underflow 0
		.amdhsa_exception_fp_ieee_inexact 0
		.amdhsa_exception_int_div_zero 0
	.end_amdhsa_kernel
	.section	.text._ZN7rocprim17ROCPRIM_400000_NS6detail17trampoline_kernelINS0_14default_configENS1_22reduce_config_selectorImEEZNS1_11reduce_implILb1ES3_PmS7_mN6thrust23THRUST_200600_302600_NS4plusImEEEE10hipError_tPvRmT1_T2_T3_mT4_P12ihipStream_tbEUlT_E0_NS1_11comp_targetILNS1_3genE10ELNS1_11target_archE1201ELNS1_3gpuE5ELNS1_3repE0EEENS1_30default_config_static_selectorELNS0_4arch9wavefront6targetE0EEEvSF_,"axG",@progbits,_ZN7rocprim17ROCPRIM_400000_NS6detail17trampoline_kernelINS0_14default_configENS1_22reduce_config_selectorImEEZNS1_11reduce_implILb1ES3_PmS7_mN6thrust23THRUST_200600_302600_NS4plusImEEEE10hipError_tPvRmT1_T2_T3_mT4_P12ihipStream_tbEUlT_E0_NS1_11comp_targetILNS1_3genE10ELNS1_11target_archE1201ELNS1_3gpuE5ELNS1_3repE0EEENS1_30default_config_static_selectorELNS0_4arch9wavefront6targetE0EEEvSF_,comdat
.Lfunc_end25:
	.size	_ZN7rocprim17ROCPRIM_400000_NS6detail17trampoline_kernelINS0_14default_configENS1_22reduce_config_selectorImEEZNS1_11reduce_implILb1ES3_PmS7_mN6thrust23THRUST_200600_302600_NS4plusImEEEE10hipError_tPvRmT1_T2_T3_mT4_P12ihipStream_tbEUlT_E0_NS1_11comp_targetILNS1_3genE10ELNS1_11target_archE1201ELNS1_3gpuE5ELNS1_3repE0EEENS1_30default_config_static_selectorELNS0_4arch9wavefront6targetE0EEEvSF_, .Lfunc_end25-_ZN7rocprim17ROCPRIM_400000_NS6detail17trampoline_kernelINS0_14default_configENS1_22reduce_config_selectorImEEZNS1_11reduce_implILb1ES3_PmS7_mN6thrust23THRUST_200600_302600_NS4plusImEEEE10hipError_tPvRmT1_T2_T3_mT4_P12ihipStream_tbEUlT_E0_NS1_11comp_targetILNS1_3genE10ELNS1_11target_archE1201ELNS1_3gpuE5ELNS1_3repE0EEENS1_30default_config_static_selectorELNS0_4arch9wavefront6targetE0EEEvSF_
                                        ; -- End function
	.set _ZN7rocprim17ROCPRIM_400000_NS6detail17trampoline_kernelINS0_14default_configENS1_22reduce_config_selectorImEEZNS1_11reduce_implILb1ES3_PmS7_mN6thrust23THRUST_200600_302600_NS4plusImEEEE10hipError_tPvRmT1_T2_T3_mT4_P12ihipStream_tbEUlT_E0_NS1_11comp_targetILNS1_3genE10ELNS1_11target_archE1201ELNS1_3gpuE5ELNS1_3repE0EEENS1_30default_config_static_selectorELNS0_4arch9wavefront6targetE0EEEvSF_.num_vgpr, 0
	.set _ZN7rocprim17ROCPRIM_400000_NS6detail17trampoline_kernelINS0_14default_configENS1_22reduce_config_selectorImEEZNS1_11reduce_implILb1ES3_PmS7_mN6thrust23THRUST_200600_302600_NS4plusImEEEE10hipError_tPvRmT1_T2_T3_mT4_P12ihipStream_tbEUlT_E0_NS1_11comp_targetILNS1_3genE10ELNS1_11target_archE1201ELNS1_3gpuE5ELNS1_3repE0EEENS1_30default_config_static_selectorELNS0_4arch9wavefront6targetE0EEEvSF_.num_agpr, 0
	.set _ZN7rocprim17ROCPRIM_400000_NS6detail17trampoline_kernelINS0_14default_configENS1_22reduce_config_selectorImEEZNS1_11reduce_implILb1ES3_PmS7_mN6thrust23THRUST_200600_302600_NS4plusImEEEE10hipError_tPvRmT1_T2_T3_mT4_P12ihipStream_tbEUlT_E0_NS1_11comp_targetILNS1_3genE10ELNS1_11target_archE1201ELNS1_3gpuE5ELNS1_3repE0EEENS1_30default_config_static_selectorELNS0_4arch9wavefront6targetE0EEEvSF_.numbered_sgpr, 0
	.set _ZN7rocprim17ROCPRIM_400000_NS6detail17trampoline_kernelINS0_14default_configENS1_22reduce_config_selectorImEEZNS1_11reduce_implILb1ES3_PmS7_mN6thrust23THRUST_200600_302600_NS4plusImEEEE10hipError_tPvRmT1_T2_T3_mT4_P12ihipStream_tbEUlT_E0_NS1_11comp_targetILNS1_3genE10ELNS1_11target_archE1201ELNS1_3gpuE5ELNS1_3repE0EEENS1_30default_config_static_selectorELNS0_4arch9wavefront6targetE0EEEvSF_.num_named_barrier, 0
	.set _ZN7rocprim17ROCPRIM_400000_NS6detail17trampoline_kernelINS0_14default_configENS1_22reduce_config_selectorImEEZNS1_11reduce_implILb1ES3_PmS7_mN6thrust23THRUST_200600_302600_NS4plusImEEEE10hipError_tPvRmT1_T2_T3_mT4_P12ihipStream_tbEUlT_E0_NS1_11comp_targetILNS1_3genE10ELNS1_11target_archE1201ELNS1_3gpuE5ELNS1_3repE0EEENS1_30default_config_static_selectorELNS0_4arch9wavefront6targetE0EEEvSF_.private_seg_size, 0
	.set _ZN7rocprim17ROCPRIM_400000_NS6detail17trampoline_kernelINS0_14default_configENS1_22reduce_config_selectorImEEZNS1_11reduce_implILb1ES3_PmS7_mN6thrust23THRUST_200600_302600_NS4plusImEEEE10hipError_tPvRmT1_T2_T3_mT4_P12ihipStream_tbEUlT_E0_NS1_11comp_targetILNS1_3genE10ELNS1_11target_archE1201ELNS1_3gpuE5ELNS1_3repE0EEENS1_30default_config_static_selectorELNS0_4arch9wavefront6targetE0EEEvSF_.uses_vcc, 0
	.set _ZN7rocprim17ROCPRIM_400000_NS6detail17trampoline_kernelINS0_14default_configENS1_22reduce_config_selectorImEEZNS1_11reduce_implILb1ES3_PmS7_mN6thrust23THRUST_200600_302600_NS4plusImEEEE10hipError_tPvRmT1_T2_T3_mT4_P12ihipStream_tbEUlT_E0_NS1_11comp_targetILNS1_3genE10ELNS1_11target_archE1201ELNS1_3gpuE5ELNS1_3repE0EEENS1_30default_config_static_selectorELNS0_4arch9wavefront6targetE0EEEvSF_.uses_flat_scratch, 0
	.set _ZN7rocprim17ROCPRIM_400000_NS6detail17trampoline_kernelINS0_14default_configENS1_22reduce_config_selectorImEEZNS1_11reduce_implILb1ES3_PmS7_mN6thrust23THRUST_200600_302600_NS4plusImEEEE10hipError_tPvRmT1_T2_T3_mT4_P12ihipStream_tbEUlT_E0_NS1_11comp_targetILNS1_3genE10ELNS1_11target_archE1201ELNS1_3gpuE5ELNS1_3repE0EEENS1_30default_config_static_selectorELNS0_4arch9wavefront6targetE0EEEvSF_.has_dyn_sized_stack, 0
	.set _ZN7rocprim17ROCPRIM_400000_NS6detail17trampoline_kernelINS0_14default_configENS1_22reduce_config_selectorImEEZNS1_11reduce_implILb1ES3_PmS7_mN6thrust23THRUST_200600_302600_NS4plusImEEEE10hipError_tPvRmT1_T2_T3_mT4_P12ihipStream_tbEUlT_E0_NS1_11comp_targetILNS1_3genE10ELNS1_11target_archE1201ELNS1_3gpuE5ELNS1_3repE0EEENS1_30default_config_static_selectorELNS0_4arch9wavefront6targetE0EEEvSF_.has_recursion, 0
	.set _ZN7rocprim17ROCPRIM_400000_NS6detail17trampoline_kernelINS0_14default_configENS1_22reduce_config_selectorImEEZNS1_11reduce_implILb1ES3_PmS7_mN6thrust23THRUST_200600_302600_NS4plusImEEEE10hipError_tPvRmT1_T2_T3_mT4_P12ihipStream_tbEUlT_E0_NS1_11comp_targetILNS1_3genE10ELNS1_11target_archE1201ELNS1_3gpuE5ELNS1_3repE0EEENS1_30default_config_static_selectorELNS0_4arch9wavefront6targetE0EEEvSF_.has_indirect_call, 0
	.section	.AMDGPU.csdata,"",@progbits
; Kernel info:
; codeLenInByte = 0
; TotalNumSgprs: 0
; NumVgprs: 0
; ScratchSize: 0
; MemoryBound: 0
; FloatMode: 240
; IeeeMode: 1
; LDSByteSize: 0 bytes/workgroup (compile time only)
; SGPRBlocks: 0
; VGPRBlocks: 0
; NumSGPRsForWavesPerEU: 1
; NumVGPRsForWavesPerEU: 1
; Occupancy: 16
; WaveLimiterHint : 0
; COMPUTE_PGM_RSRC2:SCRATCH_EN: 0
; COMPUTE_PGM_RSRC2:USER_SGPR: 6
; COMPUTE_PGM_RSRC2:TRAP_HANDLER: 0
; COMPUTE_PGM_RSRC2:TGID_X_EN: 1
; COMPUTE_PGM_RSRC2:TGID_Y_EN: 0
; COMPUTE_PGM_RSRC2:TGID_Z_EN: 0
; COMPUTE_PGM_RSRC2:TIDIG_COMP_CNT: 0
	.section	.text._ZN7rocprim17ROCPRIM_400000_NS6detail17trampoline_kernelINS0_14default_configENS1_22reduce_config_selectorImEEZNS1_11reduce_implILb1ES3_PmS7_mN6thrust23THRUST_200600_302600_NS4plusImEEEE10hipError_tPvRmT1_T2_T3_mT4_P12ihipStream_tbEUlT_E0_NS1_11comp_targetILNS1_3genE10ELNS1_11target_archE1200ELNS1_3gpuE4ELNS1_3repE0EEENS1_30default_config_static_selectorELNS0_4arch9wavefront6targetE0EEEvSF_,"axG",@progbits,_ZN7rocprim17ROCPRIM_400000_NS6detail17trampoline_kernelINS0_14default_configENS1_22reduce_config_selectorImEEZNS1_11reduce_implILb1ES3_PmS7_mN6thrust23THRUST_200600_302600_NS4plusImEEEE10hipError_tPvRmT1_T2_T3_mT4_P12ihipStream_tbEUlT_E0_NS1_11comp_targetILNS1_3genE10ELNS1_11target_archE1200ELNS1_3gpuE4ELNS1_3repE0EEENS1_30default_config_static_selectorELNS0_4arch9wavefront6targetE0EEEvSF_,comdat
	.protected	_ZN7rocprim17ROCPRIM_400000_NS6detail17trampoline_kernelINS0_14default_configENS1_22reduce_config_selectorImEEZNS1_11reduce_implILb1ES3_PmS7_mN6thrust23THRUST_200600_302600_NS4plusImEEEE10hipError_tPvRmT1_T2_T3_mT4_P12ihipStream_tbEUlT_E0_NS1_11comp_targetILNS1_3genE10ELNS1_11target_archE1200ELNS1_3gpuE4ELNS1_3repE0EEENS1_30default_config_static_selectorELNS0_4arch9wavefront6targetE0EEEvSF_ ; -- Begin function _ZN7rocprim17ROCPRIM_400000_NS6detail17trampoline_kernelINS0_14default_configENS1_22reduce_config_selectorImEEZNS1_11reduce_implILb1ES3_PmS7_mN6thrust23THRUST_200600_302600_NS4plusImEEEE10hipError_tPvRmT1_T2_T3_mT4_P12ihipStream_tbEUlT_E0_NS1_11comp_targetILNS1_3genE10ELNS1_11target_archE1200ELNS1_3gpuE4ELNS1_3repE0EEENS1_30default_config_static_selectorELNS0_4arch9wavefront6targetE0EEEvSF_
	.globl	_ZN7rocprim17ROCPRIM_400000_NS6detail17trampoline_kernelINS0_14default_configENS1_22reduce_config_selectorImEEZNS1_11reduce_implILb1ES3_PmS7_mN6thrust23THRUST_200600_302600_NS4plusImEEEE10hipError_tPvRmT1_T2_T3_mT4_P12ihipStream_tbEUlT_E0_NS1_11comp_targetILNS1_3genE10ELNS1_11target_archE1200ELNS1_3gpuE4ELNS1_3repE0EEENS1_30default_config_static_selectorELNS0_4arch9wavefront6targetE0EEEvSF_
	.p2align	8
	.type	_ZN7rocprim17ROCPRIM_400000_NS6detail17trampoline_kernelINS0_14default_configENS1_22reduce_config_selectorImEEZNS1_11reduce_implILb1ES3_PmS7_mN6thrust23THRUST_200600_302600_NS4plusImEEEE10hipError_tPvRmT1_T2_T3_mT4_P12ihipStream_tbEUlT_E0_NS1_11comp_targetILNS1_3genE10ELNS1_11target_archE1200ELNS1_3gpuE4ELNS1_3repE0EEENS1_30default_config_static_selectorELNS0_4arch9wavefront6targetE0EEEvSF_,@function
_ZN7rocprim17ROCPRIM_400000_NS6detail17trampoline_kernelINS0_14default_configENS1_22reduce_config_selectorImEEZNS1_11reduce_implILb1ES3_PmS7_mN6thrust23THRUST_200600_302600_NS4plusImEEEE10hipError_tPvRmT1_T2_T3_mT4_P12ihipStream_tbEUlT_E0_NS1_11comp_targetILNS1_3genE10ELNS1_11target_archE1200ELNS1_3gpuE4ELNS1_3repE0EEENS1_30default_config_static_selectorELNS0_4arch9wavefront6targetE0EEEvSF_: ; @_ZN7rocprim17ROCPRIM_400000_NS6detail17trampoline_kernelINS0_14default_configENS1_22reduce_config_selectorImEEZNS1_11reduce_implILb1ES3_PmS7_mN6thrust23THRUST_200600_302600_NS4plusImEEEE10hipError_tPvRmT1_T2_T3_mT4_P12ihipStream_tbEUlT_E0_NS1_11comp_targetILNS1_3genE10ELNS1_11target_archE1200ELNS1_3gpuE4ELNS1_3repE0EEENS1_30default_config_static_selectorELNS0_4arch9wavefront6targetE0EEEvSF_
; %bb.0:
	.section	.rodata,"a",@progbits
	.p2align	6, 0x0
	.amdhsa_kernel _ZN7rocprim17ROCPRIM_400000_NS6detail17trampoline_kernelINS0_14default_configENS1_22reduce_config_selectorImEEZNS1_11reduce_implILb1ES3_PmS7_mN6thrust23THRUST_200600_302600_NS4plusImEEEE10hipError_tPvRmT1_T2_T3_mT4_P12ihipStream_tbEUlT_E0_NS1_11comp_targetILNS1_3genE10ELNS1_11target_archE1200ELNS1_3gpuE4ELNS1_3repE0EEENS1_30default_config_static_selectorELNS0_4arch9wavefront6targetE0EEEvSF_
		.amdhsa_group_segment_fixed_size 0
		.amdhsa_private_segment_fixed_size 0
		.amdhsa_kernarg_size 64
		.amdhsa_user_sgpr_count 6
		.amdhsa_user_sgpr_private_segment_buffer 1
		.amdhsa_user_sgpr_dispatch_ptr 0
		.amdhsa_user_sgpr_queue_ptr 0
		.amdhsa_user_sgpr_kernarg_segment_ptr 1
		.amdhsa_user_sgpr_dispatch_id 0
		.amdhsa_user_sgpr_flat_scratch_init 0
		.amdhsa_user_sgpr_private_segment_size 0
		.amdhsa_wavefront_size32 1
		.amdhsa_uses_dynamic_stack 0
		.amdhsa_system_sgpr_private_segment_wavefront_offset 0
		.amdhsa_system_sgpr_workgroup_id_x 1
		.amdhsa_system_sgpr_workgroup_id_y 0
		.amdhsa_system_sgpr_workgroup_id_z 0
		.amdhsa_system_sgpr_workgroup_info 0
		.amdhsa_system_vgpr_workitem_id 0
		.amdhsa_next_free_vgpr 1
		.amdhsa_next_free_sgpr 1
		.amdhsa_reserve_vcc 0
		.amdhsa_reserve_flat_scratch 0
		.amdhsa_float_round_mode_32 0
		.amdhsa_float_round_mode_16_64 0
		.amdhsa_float_denorm_mode_32 3
		.amdhsa_float_denorm_mode_16_64 3
		.amdhsa_dx10_clamp 1
		.amdhsa_ieee_mode 1
		.amdhsa_fp16_overflow 0
		.amdhsa_workgroup_processor_mode 1
		.amdhsa_memory_ordered 1
		.amdhsa_forward_progress 1
		.amdhsa_shared_vgpr_count 0
		.amdhsa_exception_fp_ieee_invalid_op 0
		.amdhsa_exception_fp_denorm_src 0
		.amdhsa_exception_fp_ieee_div_zero 0
		.amdhsa_exception_fp_ieee_overflow 0
		.amdhsa_exception_fp_ieee_underflow 0
		.amdhsa_exception_fp_ieee_inexact 0
		.amdhsa_exception_int_div_zero 0
	.end_amdhsa_kernel
	.section	.text._ZN7rocprim17ROCPRIM_400000_NS6detail17trampoline_kernelINS0_14default_configENS1_22reduce_config_selectorImEEZNS1_11reduce_implILb1ES3_PmS7_mN6thrust23THRUST_200600_302600_NS4plusImEEEE10hipError_tPvRmT1_T2_T3_mT4_P12ihipStream_tbEUlT_E0_NS1_11comp_targetILNS1_3genE10ELNS1_11target_archE1200ELNS1_3gpuE4ELNS1_3repE0EEENS1_30default_config_static_selectorELNS0_4arch9wavefront6targetE0EEEvSF_,"axG",@progbits,_ZN7rocprim17ROCPRIM_400000_NS6detail17trampoline_kernelINS0_14default_configENS1_22reduce_config_selectorImEEZNS1_11reduce_implILb1ES3_PmS7_mN6thrust23THRUST_200600_302600_NS4plusImEEEE10hipError_tPvRmT1_T2_T3_mT4_P12ihipStream_tbEUlT_E0_NS1_11comp_targetILNS1_3genE10ELNS1_11target_archE1200ELNS1_3gpuE4ELNS1_3repE0EEENS1_30default_config_static_selectorELNS0_4arch9wavefront6targetE0EEEvSF_,comdat
.Lfunc_end26:
	.size	_ZN7rocprim17ROCPRIM_400000_NS6detail17trampoline_kernelINS0_14default_configENS1_22reduce_config_selectorImEEZNS1_11reduce_implILb1ES3_PmS7_mN6thrust23THRUST_200600_302600_NS4plusImEEEE10hipError_tPvRmT1_T2_T3_mT4_P12ihipStream_tbEUlT_E0_NS1_11comp_targetILNS1_3genE10ELNS1_11target_archE1200ELNS1_3gpuE4ELNS1_3repE0EEENS1_30default_config_static_selectorELNS0_4arch9wavefront6targetE0EEEvSF_, .Lfunc_end26-_ZN7rocprim17ROCPRIM_400000_NS6detail17trampoline_kernelINS0_14default_configENS1_22reduce_config_selectorImEEZNS1_11reduce_implILb1ES3_PmS7_mN6thrust23THRUST_200600_302600_NS4plusImEEEE10hipError_tPvRmT1_T2_T3_mT4_P12ihipStream_tbEUlT_E0_NS1_11comp_targetILNS1_3genE10ELNS1_11target_archE1200ELNS1_3gpuE4ELNS1_3repE0EEENS1_30default_config_static_selectorELNS0_4arch9wavefront6targetE0EEEvSF_
                                        ; -- End function
	.set _ZN7rocprim17ROCPRIM_400000_NS6detail17trampoline_kernelINS0_14default_configENS1_22reduce_config_selectorImEEZNS1_11reduce_implILb1ES3_PmS7_mN6thrust23THRUST_200600_302600_NS4plusImEEEE10hipError_tPvRmT1_T2_T3_mT4_P12ihipStream_tbEUlT_E0_NS1_11comp_targetILNS1_3genE10ELNS1_11target_archE1200ELNS1_3gpuE4ELNS1_3repE0EEENS1_30default_config_static_selectorELNS0_4arch9wavefront6targetE0EEEvSF_.num_vgpr, 0
	.set _ZN7rocprim17ROCPRIM_400000_NS6detail17trampoline_kernelINS0_14default_configENS1_22reduce_config_selectorImEEZNS1_11reduce_implILb1ES3_PmS7_mN6thrust23THRUST_200600_302600_NS4plusImEEEE10hipError_tPvRmT1_T2_T3_mT4_P12ihipStream_tbEUlT_E0_NS1_11comp_targetILNS1_3genE10ELNS1_11target_archE1200ELNS1_3gpuE4ELNS1_3repE0EEENS1_30default_config_static_selectorELNS0_4arch9wavefront6targetE0EEEvSF_.num_agpr, 0
	.set _ZN7rocprim17ROCPRIM_400000_NS6detail17trampoline_kernelINS0_14default_configENS1_22reduce_config_selectorImEEZNS1_11reduce_implILb1ES3_PmS7_mN6thrust23THRUST_200600_302600_NS4plusImEEEE10hipError_tPvRmT1_T2_T3_mT4_P12ihipStream_tbEUlT_E0_NS1_11comp_targetILNS1_3genE10ELNS1_11target_archE1200ELNS1_3gpuE4ELNS1_3repE0EEENS1_30default_config_static_selectorELNS0_4arch9wavefront6targetE0EEEvSF_.numbered_sgpr, 0
	.set _ZN7rocprim17ROCPRIM_400000_NS6detail17trampoline_kernelINS0_14default_configENS1_22reduce_config_selectorImEEZNS1_11reduce_implILb1ES3_PmS7_mN6thrust23THRUST_200600_302600_NS4plusImEEEE10hipError_tPvRmT1_T2_T3_mT4_P12ihipStream_tbEUlT_E0_NS1_11comp_targetILNS1_3genE10ELNS1_11target_archE1200ELNS1_3gpuE4ELNS1_3repE0EEENS1_30default_config_static_selectorELNS0_4arch9wavefront6targetE0EEEvSF_.num_named_barrier, 0
	.set _ZN7rocprim17ROCPRIM_400000_NS6detail17trampoline_kernelINS0_14default_configENS1_22reduce_config_selectorImEEZNS1_11reduce_implILb1ES3_PmS7_mN6thrust23THRUST_200600_302600_NS4plusImEEEE10hipError_tPvRmT1_T2_T3_mT4_P12ihipStream_tbEUlT_E0_NS1_11comp_targetILNS1_3genE10ELNS1_11target_archE1200ELNS1_3gpuE4ELNS1_3repE0EEENS1_30default_config_static_selectorELNS0_4arch9wavefront6targetE0EEEvSF_.private_seg_size, 0
	.set _ZN7rocprim17ROCPRIM_400000_NS6detail17trampoline_kernelINS0_14default_configENS1_22reduce_config_selectorImEEZNS1_11reduce_implILb1ES3_PmS7_mN6thrust23THRUST_200600_302600_NS4plusImEEEE10hipError_tPvRmT1_T2_T3_mT4_P12ihipStream_tbEUlT_E0_NS1_11comp_targetILNS1_3genE10ELNS1_11target_archE1200ELNS1_3gpuE4ELNS1_3repE0EEENS1_30default_config_static_selectorELNS0_4arch9wavefront6targetE0EEEvSF_.uses_vcc, 0
	.set _ZN7rocprim17ROCPRIM_400000_NS6detail17trampoline_kernelINS0_14default_configENS1_22reduce_config_selectorImEEZNS1_11reduce_implILb1ES3_PmS7_mN6thrust23THRUST_200600_302600_NS4plusImEEEE10hipError_tPvRmT1_T2_T3_mT4_P12ihipStream_tbEUlT_E0_NS1_11comp_targetILNS1_3genE10ELNS1_11target_archE1200ELNS1_3gpuE4ELNS1_3repE0EEENS1_30default_config_static_selectorELNS0_4arch9wavefront6targetE0EEEvSF_.uses_flat_scratch, 0
	.set _ZN7rocprim17ROCPRIM_400000_NS6detail17trampoline_kernelINS0_14default_configENS1_22reduce_config_selectorImEEZNS1_11reduce_implILb1ES3_PmS7_mN6thrust23THRUST_200600_302600_NS4plusImEEEE10hipError_tPvRmT1_T2_T3_mT4_P12ihipStream_tbEUlT_E0_NS1_11comp_targetILNS1_3genE10ELNS1_11target_archE1200ELNS1_3gpuE4ELNS1_3repE0EEENS1_30default_config_static_selectorELNS0_4arch9wavefront6targetE0EEEvSF_.has_dyn_sized_stack, 0
	.set _ZN7rocprim17ROCPRIM_400000_NS6detail17trampoline_kernelINS0_14default_configENS1_22reduce_config_selectorImEEZNS1_11reduce_implILb1ES3_PmS7_mN6thrust23THRUST_200600_302600_NS4plusImEEEE10hipError_tPvRmT1_T2_T3_mT4_P12ihipStream_tbEUlT_E0_NS1_11comp_targetILNS1_3genE10ELNS1_11target_archE1200ELNS1_3gpuE4ELNS1_3repE0EEENS1_30default_config_static_selectorELNS0_4arch9wavefront6targetE0EEEvSF_.has_recursion, 0
	.set _ZN7rocprim17ROCPRIM_400000_NS6detail17trampoline_kernelINS0_14default_configENS1_22reduce_config_selectorImEEZNS1_11reduce_implILb1ES3_PmS7_mN6thrust23THRUST_200600_302600_NS4plusImEEEE10hipError_tPvRmT1_T2_T3_mT4_P12ihipStream_tbEUlT_E0_NS1_11comp_targetILNS1_3genE10ELNS1_11target_archE1200ELNS1_3gpuE4ELNS1_3repE0EEENS1_30default_config_static_selectorELNS0_4arch9wavefront6targetE0EEEvSF_.has_indirect_call, 0
	.section	.AMDGPU.csdata,"",@progbits
; Kernel info:
; codeLenInByte = 0
; TotalNumSgprs: 0
; NumVgprs: 0
; ScratchSize: 0
; MemoryBound: 0
; FloatMode: 240
; IeeeMode: 1
; LDSByteSize: 0 bytes/workgroup (compile time only)
; SGPRBlocks: 0
; VGPRBlocks: 0
; NumSGPRsForWavesPerEU: 1
; NumVGPRsForWavesPerEU: 1
; Occupancy: 16
; WaveLimiterHint : 0
; COMPUTE_PGM_RSRC2:SCRATCH_EN: 0
; COMPUTE_PGM_RSRC2:USER_SGPR: 6
; COMPUTE_PGM_RSRC2:TRAP_HANDLER: 0
; COMPUTE_PGM_RSRC2:TGID_X_EN: 1
; COMPUTE_PGM_RSRC2:TGID_Y_EN: 0
; COMPUTE_PGM_RSRC2:TGID_Z_EN: 0
; COMPUTE_PGM_RSRC2:TIDIG_COMP_CNT: 0
	.section	.text._ZN7rocprim17ROCPRIM_400000_NS6detail17trampoline_kernelINS0_14default_configENS1_22reduce_config_selectorImEEZNS1_11reduce_implILb1ES3_PmS7_mN6thrust23THRUST_200600_302600_NS4plusImEEEE10hipError_tPvRmT1_T2_T3_mT4_P12ihipStream_tbEUlT_E0_NS1_11comp_targetILNS1_3genE9ELNS1_11target_archE1100ELNS1_3gpuE3ELNS1_3repE0EEENS1_30default_config_static_selectorELNS0_4arch9wavefront6targetE0EEEvSF_,"axG",@progbits,_ZN7rocprim17ROCPRIM_400000_NS6detail17trampoline_kernelINS0_14default_configENS1_22reduce_config_selectorImEEZNS1_11reduce_implILb1ES3_PmS7_mN6thrust23THRUST_200600_302600_NS4plusImEEEE10hipError_tPvRmT1_T2_T3_mT4_P12ihipStream_tbEUlT_E0_NS1_11comp_targetILNS1_3genE9ELNS1_11target_archE1100ELNS1_3gpuE3ELNS1_3repE0EEENS1_30default_config_static_selectorELNS0_4arch9wavefront6targetE0EEEvSF_,comdat
	.protected	_ZN7rocprim17ROCPRIM_400000_NS6detail17trampoline_kernelINS0_14default_configENS1_22reduce_config_selectorImEEZNS1_11reduce_implILb1ES3_PmS7_mN6thrust23THRUST_200600_302600_NS4plusImEEEE10hipError_tPvRmT1_T2_T3_mT4_P12ihipStream_tbEUlT_E0_NS1_11comp_targetILNS1_3genE9ELNS1_11target_archE1100ELNS1_3gpuE3ELNS1_3repE0EEENS1_30default_config_static_selectorELNS0_4arch9wavefront6targetE0EEEvSF_ ; -- Begin function _ZN7rocprim17ROCPRIM_400000_NS6detail17trampoline_kernelINS0_14default_configENS1_22reduce_config_selectorImEEZNS1_11reduce_implILb1ES3_PmS7_mN6thrust23THRUST_200600_302600_NS4plusImEEEE10hipError_tPvRmT1_T2_T3_mT4_P12ihipStream_tbEUlT_E0_NS1_11comp_targetILNS1_3genE9ELNS1_11target_archE1100ELNS1_3gpuE3ELNS1_3repE0EEENS1_30default_config_static_selectorELNS0_4arch9wavefront6targetE0EEEvSF_
	.globl	_ZN7rocprim17ROCPRIM_400000_NS6detail17trampoline_kernelINS0_14default_configENS1_22reduce_config_selectorImEEZNS1_11reduce_implILb1ES3_PmS7_mN6thrust23THRUST_200600_302600_NS4plusImEEEE10hipError_tPvRmT1_T2_T3_mT4_P12ihipStream_tbEUlT_E0_NS1_11comp_targetILNS1_3genE9ELNS1_11target_archE1100ELNS1_3gpuE3ELNS1_3repE0EEENS1_30default_config_static_selectorELNS0_4arch9wavefront6targetE0EEEvSF_
	.p2align	8
	.type	_ZN7rocprim17ROCPRIM_400000_NS6detail17trampoline_kernelINS0_14default_configENS1_22reduce_config_selectorImEEZNS1_11reduce_implILb1ES3_PmS7_mN6thrust23THRUST_200600_302600_NS4plusImEEEE10hipError_tPvRmT1_T2_T3_mT4_P12ihipStream_tbEUlT_E0_NS1_11comp_targetILNS1_3genE9ELNS1_11target_archE1100ELNS1_3gpuE3ELNS1_3repE0EEENS1_30default_config_static_selectorELNS0_4arch9wavefront6targetE0EEEvSF_,@function
_ZN7rocprim17ROCPRIM_400000_NS6detail17trampoline_kernelINS0_14default_configENS1_22reduce_config_selectorImEEZNS1_11reduce_implILb1ES3_PmS7_mN6thrust23THRUST_200600_302600_NS4plusImEEEE10hipError_tPvRmT1_T2_T3_mT4_P12ihipStream_tbEUlT_E0_NS1_11comp_targetILNS1_3genE9ELNS1_11target_archE1100ELNS1_3gpuE3ELNS1_3repE0EEENS1_30default_config_static_selectorELNS0_4arch9wavefront6targetE0EEEvSF_: ; @_ZN7rocprim17ROCPRIM_400000_NS6detail17trampoline_kernelINS0_14default_configENS1_22reduce_config_selectorImEEZNS1_11reduce_implILb1ES3_PmS7_mN6thrust23THRUST_200600_302600_NS4plusImEEEE10hipError_tPvRmT1_T2_T3_mT4_P12ihipStream_tbEUlT_E0_NS1_11comp_targetILNS1_3genE9ELNS1_11target_archE1100ELNS1_3gpuE3ELNS1_3repE0EEENS1_30default_config_static_selectorELNS0_4arch9wavefront6targetE0EEEvSF_
; %bb.0:
	.section	.rodata,"a",@progbits
	.p2align	6, 0x0
	.amdhsa_kernel _ZN7rocprim17ROCPRIM_400000_NS6detail17trampoline_kernelINS0_14default_configENS1_22reduce_config_selectorImEEZNS1_11reduce_implILb1ES3_PmS7_mN6thrust23THRUST_200600_302600_NS4plusImEEEE10hipError_tPvRmT1_T2_T3_mT4_P12ihipStream_tbEUlT_E0_NS1_11comp_targetILNS1_3genE9ELNS1_11target_archE1100ELNS1_3gpuE3ELNS1_3repE0EEENS1_30default_config_static_selectorELNS0_4arch9wavefront6targetE0EEEvSF_
		.amdhsa_group_segment_fixed_size 0
		.amdhsa_private_segment_fixed_size 0
		.amdhsa_kernarg_size 64
		.amdhsa_user_sgpr_count 6
		.amdhsa_user_sgpr_private_segment_buffer 1
		.amdhsa_user_sgpr_dispatch_ptr 0
		.amdhsa_user_sgpr_queue_ptr 0
		.amdhsa_user_sgpr_kernarg_segment_ptr 1
		.amdhsa_user_sgpr_dispatch_id 0
		.amdhsa_user_sgpr_flat_scratch_init 0
		.amdhsa_user_sgpr_private_segment_size 0
		.amdhsa_wavefront_size32 1
		.amdhsa_uses_dynamic_stack 0
		.amdhsa_system_sgpr_private_segment_wavefront_offset 0
		.amdhsa_system_sgpr_workgroup_id_x 1
		.amdhsa_system_sgpr_workgroup_id_y 0
		.amdhsa_system_sgpr_workgroup_id_z 0
		.amdhsa_system_sgpr_workgroup_info 0
		.amdhsa_system_vgpr_workitem_id 0
		.amdhsa_next_free_vgpr 1
		.amdhsa_next_free_sgpr 1
		.amdhsa_reserve_vcc 0
		.amdhsa_reserve_flat_scratch 0
		.amdhsa_float_round_mode_32 0
		.amdhsa_float_round_mode_16_64 0
		.amdhsa_float_denorm_mode_32 3
		.amdhsa_float_denorm_mode_16_64 3
		.amdhsa_dx10_clamp 1
		.amdhsa_ieee_mode 1
		.amdhsa_fp16_overflow 0
		.amdhsa_workgroup_processor_mode 1
		.amdhsa_memory_ordered 1
		.amdhsa_forward_progress 1
		.amdhsa_shared_vgpr_count 0
		.amdhsa_exception_fp_ieee_invalid_op 0
		.amdhsa_exception_fp_denorm_src 0
		.amdhsa_exception_fp_ieee_div_zero 0
		.amdhsa_exception_fp_ieee_overflow 0
		.amdhsa_exception_fp_ieee_underflow 0
		.amdhsa_exception_fp_ieee_inexact 0
		.amdhsa_exception_int_div_zero 0
	.end_amdhsa_kernel
	.section	.text._ZN7rocprim17ROCPRIM_400000_NS6detail17trampoline_kernelINS0_14default_configENS1_22reduce_config_selectorImEEZNS1_11reduce_implILb1ES3_PmS7_mN6thrust23THRUST_200600_302600_NS4plusImEEEE10hipError_tPvRmT1_T2_T3_mT4_P12ihipStream_tbEUlT_E0_NS1_11comp_targetILNS1_3genE9ELNS1_11target_archE1100ELNS1_3gpuE3ELNS1_3repE0EEENS1_30default_config_static_selectorELNS0_4arch9wavefront6targetE0EEEvSF_,"axG",@progbits,_ZN7rocprim17ROCPRIM_400000_NS6detail17trampoline_kernelINS0_14default_configENS1_22reduce_config_selectorImEEZNS1_11reduce_implILb1ES3_PmS7_mN6thrust23THRUST_200600_302600_NS4plusImEEEE10hipError_tPvRmT1_T2_T3_mT4_P12ihipStream_tbEUlT_E0_NS1_11comp_targetILNS1_3genE9ELNS1_11target_archE1100ELNS1_3gpuE3ELNS1_3repE0EEENS1_30default_config_static_selectorELNS0_4arch9wavefront6targetE0EEEvSF_,comdat
.Lfunc_end27:
	.size	_ZN7rocprim17ROCPRIM_400000_NS6detail17trampoline_kernelINS0_14default_configENS1_22reduce_config_selectorImEEZNS1_11reduce_implILb1ES3_PmS7_mN6thrust23THRUST_200600_302600_NS4plusImEEEE10hipError_tPvRmT1_T2_T3_mT4_P12ihipStream_tbEUlT_E0_NS1_11comp_targetILNS1_3genE9ELNS1_11target_archE1100ELNS1_3gpuE3ELNS1_3repE0EEENS1_30default_config_static_selectorELNS0_4arch9wavefront6targetE0EEEvSF_, .Lfunc_end27-_ZN7rocprim17ROCPRIM_400000_NS6detail17trampoline_kernelINS0_14default_configENS1_22reduce_config_selectorImEEZNS1_11reduce_implILb1ES3_PmS7_mN6thrust23THRUST_200600_302600_NS4plusImEEEE10hipError_tPvRmT1_T2_T3_mT4_P12ihipStream_tbEUlT_E0_NS1_11comp_targetILNS1_3genE9ELNS1_11target_archE1100ELNS1_3gpuE3ELNS1_3repE0EEENS1_30default_config_static_selectorELNS0_4arch9wavefront6targetE0EEEvSF_
                                        ; -- End function
	.set _ZN7rocprim17ROCPRIM_400000_NS6detail17trampoline_kernelINS0_14default_configENS1_22reduce_config_selectorImEEZNS1_11reduce_implILb1ES3_PmS7_mN6thrust23THRUST_200600_302600_NS4plusImEEEE10hipError_tPvRmT1_T2_T3_mT4_P12ihipStream_tbEUlT_E0_NS1_11comp_targetILNS1_3genE9ELNS1_11target_archE1100ELNS1_3gpuE3ELNS1_3repE0EEENS1_30default_config_static_selectorELNS0_4arch9wavefront6targetE0EEEvSF_.num_vgpr, 0
	.set _ZN7rocprim17ROCPRIM_400000_NS6detail17trampoline_kernelINS0_14default_configENS1_22reduce_config_selectorImEEZNS1_11reduce_implILb1ES3_PmS7_mN6thrust23THRUST_200600_302600_NS4plusImEEEE10hipError_tPvRmT1_T2_T3_mT4_P12ihipStream_tbEUlT_E0_NS1_11comp_targetILNS1_3genE9ELNS1_11target_archE1100ELNS1_3gpuE3ELNS1_3repE0EEENS1_30default_config_static_selectorELNS0_4arch9wavefront6targetE0EEEvSF_.num_agpr, 0
	.set _ZN7rocprim17ROCPRIM_400000_NS6detail17trampoline_kernelINS0_14default_configENS1_22reduce_config_selectorImEEZNS1_11reduce_implILb1ES3_PmS7_mN6thrust23THRUST_200600_302600_NS4plusImEEEE10hipError_tPvRmT1_T2_T3_mT4_P12ihipStream_tbEUlT_E0_NS1_11comp_targetILNS1_3genE9ELNS1_11target_archE1100ELNS1_3gpuE3ELNS1_3repE0EEENS1_30default_config_static_selectorELNS0_4arch9wavefront6targetE0EEEvSF_.numbered_sgpr, 0
	.set _ZN7rocprim17ROCPRIM_400000_NS6detail17trampoline_kernelINS0_14default_configENS1_22reduce_config_selectorImEEZNS1_11reduce_implILb1ES3_PmS7_mN6thrust23THRUST_200600_302600_NS4plusImEEEE10hipError_tPvRmT1_T2_T3_mT4_P12ihipStream_tbEUlT_E0_NS1_11comp_targetILNS1_3genE9ELNS1_11target_archE1100ELNS1_3gpuE3ELNS1_3repE0EEENS1_30default_config_static_selectorELNS0_4arch9wavefront6targetE0EEEvSF_.num_named_barrier, 0
	.set _ZN7rocprim17ROCPRIM_400000_NS6detail17trampoline_kernelINS0_14default_configENS1_22reduce_config_selectorImEEZNS1_11reduce_implILb1ES3_PmS7_mN6thrust23THRUST_200600_302600_NS4plusImEEEE10hipError_tPvRmT1_T2_T3_mT4_P12ihipStream_tbEUlT_E0_NS1_11comp_targetILNS1_3genE9ELNS1_11target_archE1100ELNS1_3gpuE3ELNS1_3repE0EEENS1_30default_config_static_selectorELNS0_4arch9wavefront6targetE0EEEvSF_.private_seg_size, 0
	.set _ZN7rocprim17ROCPRIM_400000_NS6detail17trampoline_kernelINS0_14default_configENS1_22reduce_config_selectorImEEZNS1_11reduce_implILb1ES3_PmS7_mN6thrust23THRUST_200600_302600_NS4plusImEEEE10hipError_tPvRmT1_T2_T3_mT4_P12ihipStream_tbEUlT_E0_NS1_11comp_targetILNS1_3genE9ELNS1_11target_archE1100ELNS1_3gpuE3ELNS1_3repE0EEENS1_30default_config_static_selectorELNS0_4arch9wavefront6targetE0EEEvSF_.uses_vcc, 0
	.set _ZN7rocprim17ROCPRIM_400000_NS6detail17trampoline_kernelINS0_14default_configENS1_22reduce_config_selectorImEEZNS1_11reduce_implILb1ES3_PmS7_mN6thrust23THRUST_200600_302600_NS4plusImEEEE10hipError_tPvRmT1_T2_T3_mT4_P12ihipStream_tbEUlT_E0_NS1_11comp_targetILNS1_3genE9ELNS1_11target_archE1100ELNS1_3gpuE3ELNS1_3repE0EEENS1_30default_config_static_selectorELNS0_4arch9wavefront6targetE0EEEvSF_.uses_flat_scratch, 0
	.set _ZN7rocprim17ROCPRIM_400000_NS6detail17trampoline_kernelINS0_14default_configENS1_22reduce_config_selectorImEEZNS1_11reduce_implILb1ES3_PmS7_mN6thrust23THRUST_200600_302600_NS4plusImEEEE10hipError_tPvRmT1_T2_T3_mT4_P12ihipStream_tbEUlT_E0_NS1_11comp_targetILNS1_3genE9ELNS1_11target_archE1100ELNS1_3gpuE3ELNS1_3repE0EEENS1_30default_config_static_selectorELNS0_4arch9wavefront6targetE0EEEvSF_.has_dyn_sized_stack, 0
	.set _ZN7rocprim17ROCPRIM_400000_NS6detail17trampoline_kernelINS0_14default_configENS1_22reduce_config_selectorImEEZNS1_11reduce_implILb1ES3_PmS7_mN6thrust23THRUST_200600_302600_NS4plusImEEEE10hipError_tPvRmT1_T2_T3_mT4_P12ihipStream_tbEUlT_E0_NS1_11comp_targetILNS1_3genE9ELNS1_11target_archE1100ELNS1_3gpuE3ELNS1_3repE0EEENS1_30default_config_static_selectorELNS0_4arch9wavefront6targetE0EEEvSF_.has_recursion, 0
	.set _ZN7rocprim17ROCPRIM_400000_NS6detail17trampoline_kernelINS0_14default_configENS1_22reduce_config_selectorImEEZNS1_11reduce_implILb1ES3_PmS7_mN6thrust23THRUST_200600_302600_NS4plusImEEEE10hipError_tPvRmT1_T2_T3_mT4_P12ihipStream_tbEUlT_E0_NS1_11comp_targetILNS1_3genE9ELNS1_11target_archE1100ELNS1_3gpuE3ELNS1_3repE0EEENS1_30default_config_static_selectorELNS0_4arch9wavefront6targetE0EEEvSF_.has_indirect_call, 0
	.section	.AMDGPU.csdata,"",@progbits
; Kernel info:
; codeLenInByte = 0
; TotalNumSgprs: 0
; NumVgprs: 0
; ScratchSize: 0
; MemoryBound: 0
; FloatMode: 240
; IeeeMode: 1
; LDSByteSize: 0 bytes/workgroup (compile time only)
; SGPRBlocks: 0
; VGPRBlocks: 0
; NumSGPRsForWavesPerEU: 1
; NumVGPRsForWavesPerEU: 1
; Occupancy: 16
; WaveLimiterHint : 0
; COMPUTE_PGM_RSRC2:SCRATCH_EN: 0
; COMPUTE_PGM_RSRC2:USER_SGPR: 6
; COMPUTE_PGM_RSRC2:TRAP_HANDLER: 0
; COMPUTE_PGM_RSRC2:TGID_X_EN: 1
; COMPUTE_PGM_RSRC2:TGID_Y_EN: 0
; COMPUTE_PGM_RSRC2:TGID_Z_EN: 0
; COMPUTE_PGM_RSRC2:TIDIG_COMP_CNT: 0
	.section	.text._ZN7rocprim17ROCPRIM_400000_NS6detail17trampoline_kernelINS0_14default_configENS1_22reduce_config_selectorImEEZNS1_11reduce_implILb1ES3_PmS7_mN6thrust23THRUST_200600_302600_NS4plusImEEEE10hipError_tPvRmT1_T2_T3_mT4_P12ihipStream_tbEUlT_E0_NS1_11comp_targetILNS1_3genE8ELNS1_11target_archE1030ELNS1_3gpuE2ELNS1_3repE0EEENS1_30default_config_static_selectorELNS0_4arch9wavefront6targetE0EEEvSF_,"axG",@progbits,_ZN7rocprim17ROCPRIM_400000_NS6detail17trampoline_kernelINS0_14default_configENS1_22reduce_config_selectorImEEZNS1_11reduce_implILb1ES3_PmS7_mN6thrust23THRUST_200600_302600_NS4plusImEEEE10hipError_tPvRmT1_T2_T3_mT4_P12ihipStream_tbEUlT_E0_NS1_11comp_targetILNS1_3genE8ELNS1_11target_archE1030ELNS1_3gpuE2ELNS1_3repE0EEENS1_30default_config_static_selectorELNS0_4arch9wavefront6targetE0EEEvSF_,comdat
	.protected	_ZN7rocprim17ROCPRIM_400000_NS6detail17trampoline_kernelINS0_14default_configENS1_22reduce_config_selectorImEEZNS1_11reduce_implILb1ES3_PmS7_mN6thrust23THRUST_200600_302600_NS4plusImEEEE10hipError_tPvRmT1_T2_T3_mT4_P12ihipStream_tbEUlT_E0_NS1_11comp_targetILNS1_3genE8ELNS1_11target_archE1030ELNS1_3gpuE2ELNS1_3repE0EEENS1_30default_config_static_selectorELNS0_4arch9wavefront6targetE0EEEvSF_ ; -- Begin function _ZN7rocprim17ROCPRIM_400000_NS6detail17trampoline_kernelINS0_14default_configENS1_22reduce_config_selectorImEEZNS1_11reduce_implILb1ES3_PmS7_mN6thrust23THRUST_200600_302600_NS4plusImEEEE10hipError_tPvRmT1_T2_T3_mT4_P12ihipStream_tbEUlT_E0_NS1_11comp_targetILNS1_3genE8ELNS1_11target_archE1030ELNS1_3gpuE2ELNS1_3repE0EEENS1_30default_config_static_selectorELNS0_4arch9wavefront6targetE0EEEvSF_
	.globl	_ZN7rocprim17ROCPRIM_400000_NS6detail17trampoline_kernelINS0_14default_configENS1_22reduce_config_selectorImEEZNS1_11reduce_implILb1ES3_PmS7_mN6thrust23THRUST_200600_302600_NS4plusImEEEE10hipError_tPvRmT1_T2_T3_mT4_P12ihipStream_tbEUlT_E0_NS1_11comp_targetILNS1_3genE8ELNS1_11target_archE1030ELNS1_3gpuE2ELNS1_3repE0EEENS1_30default_config_static_selectorELNS0_4arch9wavefront6targetE0EEEvSF_
	.p2align	8
	.type	_ZN7rocprim17ROCPRIM_400000_NS6detail17trampoline_kernelINS0_14default_configENS1_22reduce_config_selectorImEEZNS1_11reduce_implILb1ES3_PmS7_mN6thrust23THRUST_200600_302600_NS4plusImEEEE10hipError_tPvRmT1_T2_T3_mT4_P12ihipStream_tbEUlT_E0_NS1_11comp_targetILNS1_3genE8ELNS1_11target_archE1030ELNS1_3gpuE2ELNS1_3repE0EEENS1_30default_config_static_selectorELNS0_4arch9wavefront6targetE0EEEvSF_,@function
_ZN7rocprim17ROCPRIM_400000_NS6detail17trampoline_kernelINS0_14default_configENS1_22reduce_config_selectorImEEZNS1_11reduce_implILb1ES3_PmS7_mN6thrust23THRUST_200600_302600_NS4plusImEEEE10hipError_tPvRmT1_T2_T3_mT4_P12ihipStream_tbEUlT_E0_NS1_11comp_targetILNS1_3genE8ELNS1_11target_archE1030ELNS1_3gpuE2ELNS1_3repE0EEENS1_30default_config_static_selectorELNS0_4arch9wavefront6targetE0EEEvSF_: ; @_ZN7rocprim17ROCPRIM_400000_NS6detail17trampoline_kernelINS0_14default_configENS1_22reduce_config_selectorImEEZNS1_11reduce_implILb1ES3_PmS7_mN6thrust23THRUST_200600_302600_NS4plusImEEEE10hipError_tPvRmT1_T2_T3_mT4_P12ihipStream_tbEUlT_E0_NS1_11comp_targetILNS1_3genE8ELNS1_11target_archE1030ELNS1_3gpuE2ELNS1_3repE0EEENS1_30default_config_static_selectorELNS0_4arch9wavefront6targetE0EEEvSF_
; %bb.0:
	s_clause 0x2
	s_load_dwordx8 s[8:15], s[4:5], 0x0
	s_load_dwordx4 s[0:3], s[4:5], 0x20
	s_load_dwordx2 s[4:5], s[4:5], 0x30
	s_mov_b32 s17, 0
	v_mbcnt_lo_u32_b32 v3, -1, 0
	s_mov_b32 s7, s17
	s_waitcnt lgkmcnt(0)
	s_lshl_b64 s[10:11], s[10:11], 3
	s_add_u32 s8, s8, s10
	s_addc_u32 s9, s9, s11
	s_lshr_b64 s[10:11], s[12:13], 8
	s_lshl_b32 s16, s6, 8
	s_cmp_lg_u64 s[10:11], s[6:7]
	s_cbranch_scc0 .LBB28_6
; %bb.1:
	s_lshl_b64 s[10:11], s[16:17], 3
	v_lshlrev_b32_e32 v1, 3, v0
	s_add_u32 s10, s8, s10
	s_addc_u32 s11, s9, s11
	global_load_dwordx2 v[1:2], v1, s[10:11]
	s_mov_b32 s10, exec_lo
	s_waitcnt vmcnt(0)
	v_mov_b32_dpp v4, v1 quad_perm:[1,0,3,2] row_mask:0xf bank_mask:0xf
	v_add_co_u32 v1, vcc_lo, v1, v4
	v_mov_b32_dpp v4, v2 quad_perm:[1,0,3,2] row_mask:0xf bank_mask:0xf
	v_add_co_ci_u32_e64 v2, null, 0, v2, vcc_lo
	v_mov_b32_dpp v5, v1 quad_perm:[2,3,0,1] row_mask:0xf bank_mask:0xf
	v_add_co_u32 v1, vcc_lo, 0, v1
	v_add_co_ci_u32_e64 v2, null, v4, v2, vcc_lo
	v_add_co_u32 v1, vcc_lo, v1, v5
	v_mov_b32_dpp v4, v2 quad_perm:[2,3,0,1] row_mask:0xf bank_mask:0xf
	v_add_co_ci_u32_e64 v2, null, 0, v2, vcc_lo
	v_mov_b32_dpp v5, v1 row_ror:4 row_mask:0xf bank_mask:0xf
	v_add_co_u32 v1, vcc_lo, v1, 0
	v_add_co_ci_u32_e64 v2, null, v2, v4, vcc_lo
	v_add_co_u32 v1, vcc_lo, v1, v5
	v_mov_b32_dpp v4, v2 row_ror:4 row_mask:0xf bank_mask:0xf
	v_add_co_ci_u32_e64 v2, null, 0, v2, vcc_lo
	v_mov_b32_dpp v5, v1 row_ror:8 row_mask:0xf bank_mask:0xf
	v_add_co_u32 v1, vcc_lo, v1, 0
	v_add_co_ci_u32_e64 v2, null, v2, v4, vcc_lo
	v_add_co_u32 v1, vcc_lo, v1, v5
	v_mov_b32_dpp v4, v2 row_ror:8 row_mask:0xf bank_mask:0xf
	v_add_co_ci_u32_e64 v2, null, 0, v2, vcc_lo
	ds_swizzle_b32 v5, v1 offset:swizzle(BROADCAST,32,15)
	v_add_co_u32 v1, vcc_lo, v1, 0
	v_add_co_ci_u32_e64 v2, null, v2, v4, vcc_lo
	ds_swizzle_b32 v4, v2 offset:swizzle(BROADCAST,32,15)
	s_waitcnt lgkmcnt(1)
	v_add_co_u32 v1, vcc_lo, v1, v5
	v_add_co_ci_u32_e64 v2, null, 0, v2, vcc_lo
	v_mov_b32_e32 v5, 0
	s_waitcnt lgkmcnt(0)
	v_add_nc_u32_e32 v2, v4, v2
	ds_bpermute_b32 v1, v5, v1 offset:124
	ds_bpermute_b32 v2, v5, v2 offset:124
	v_cmpx_eq_u32_e32 0, v3
	s_cbranch_execz .LBB28_3
; %bb.2:
	v_lshrrev_b32_e32 v4, 2, v0
	v_and_b32_e32 v4, 56, v4
	s_waitcnt lgkmcnt(0)
	ds_write_b64 v4, v[1:2]
.LBB28_3:
	s_or_b32 exec_lo, exec_lo, s10
	s_mov_b32 s10, exec_lo
	s_waitcnt lgkmcnt(0)
	s_barrier
	buffer_gl0_inv
	v_cmpx_gt_u32_e32 32, v0
	s_cbranch_execz .LBB28_5
; %bb.4:
	v_and_b32_e32 v4, 7, v3
	v_lshlrev_b32_e32 v1, 3, v4
	v_cmp_ne_u32_e32 vcc_lo, 7, v4
	ds_read_b64 v[1:2], v1
	v_add_co_ci_u32_e64 v5, null, 0, v3, vcc_lo
	v_cmp_gt_u32_e32 vcc_lo, 6, v4
	v_lshlrev_b32_e32 v5, 2, v5
	v_cndmask_b32_e64 v4, 0, 2, vcc_lo
	v_add_lshl_u32 v4, v4, v3, 2
	s_waitcnt lgkmcnt(0)
	ds_bpermute_b32 v6, v5, v1
	ds_bpermute_b32 v5, v5, v2
	s_waitcnt lgkmcnt(1)
	v_add_co_u32 v1, vcc_lo, v1, v6
	v_add_co_ci_u32_e64 v2, null, 0, v2, vcc_lo
	ds_bpermute_b32 v6, v4, v1
	v_add_co_u32 v1, vcc_lo, 0, v1
	s_waitcnt lgkmcnt(1)
	v_add_co_ci_u32_e64 v2, null, v5, v2, vcc_lo
	v_lshlrev_b32_e32 v5, 2, v3
	ds_bpermute_b32 v4, v4, v2
	v_or_b32_e32 v5, 16, v5
	s_waitcnt lgkmcnt(1)
	v_add_co_u32 v1, vcc_lo, v1, v6
	v_add_co_ci_u32_e64 v2, null, 0, v2, vcc_lo
	ds_bpermute_b32 v6, v5, v1
	v_add_co_u32 v1, vcc_lo, v1, 0
	s_waitcnt lgkmcnt(1)
	v_add_co_ci_u32_e64 v2, null, v2, v4, vcc_lo
	ds_bpermute_b32 v4, v5, v2
	s_waitcnt lgkmcnt(1)
	v_add_co_u32 v1, vcc_lo, v1, v6
	v_add_co_ci_u32_e64 v2, null, 0, v2, vcc_lo
	v_add_co_u32 v1, vcc_lo, v1, 0
	s_waitcnt lgkmcnt(0)
	v_add_co_ci_u32_e64 v2, null, v2, v4, vcc_lo
.LBB28_5:
	s_or_b32 exec_lo, exec_lo, s10
	s_branch .LBB28_30
.LBB28_6:
                                        ; implicit-def: $vgpr1_vgpr2
	s_cbranch_execz .LBB28_30
; %bb.7:
	s_sub_i32 s10, s12, s16
	s_mov_b32 s11, exec_lo
                                        ; implicit-def: $vgpr1_vgpr2
	v_cmpx_gt_u32_e64 s10, v0
	s_cbranch_execz .LBB28_9
; %bb.8:
	s_lshl_b64 s[16:17], s[16:17], 3
	v_lshlrev_b32_e32 v1, 3, v0
	s_add_u32 s8, s8, s16
	s_addc_u32 s9, s9, s17
	global_load_dwordx2 v[1:2], v1, s[8:9]
.LBB28_9:
	s_or_b32 exec_lo, exec_lo, s11
	v_cmp_ne_u32_e32 vcc_lo, 31, v3
	s_min_u32 s8, s10, 0x100
	v_add_nc_u32_e32 v6, 1, v3
	v_add_co_ci_u32_e64 v4, null, 0, v3, vcc_lo
	v_lshlrev_b32_e32 v4, 2, v4
	s_waitcnt vmcnt(0)
	ds_bpermute_b32 v7, v4, v1
	ds_bpermute_b32 v5, v4, v2
	v_and_b32_e32 v4, 0xe0, v0
	v_sub_nc_u32_e64 v4, s8, v4 clamp
	v_cmp_lt_u32_e32 vcc_lo, v6, v4
	v_mov_b32_e32 v6, v1
	s_and_saveexec_b32 s9, vcc_lo
	s_cbranch_execz .LBB28_11
; %bb.10:
	s_waitcnt lgkmcnt(1)
	v_add_co_u32 v6, vcc_lo, v1, v7
	v_add_co_ci_u32_e64 v2, null, 0, v2, vcc_lo
	v_add_co_u32 v1, vcc_lo, 0, v6
	s_waitcnt lgkmcnt(0)
	v_add_co_ci_u32_e64 v2, null, v5, v2, vcc_lo
.LBB28_11:
	s_or_b32 exec_lo, exec_lo, s9
	v_cmp_gt_u32_e32 vcc_lo, 30, v3
	v_add_nc_u32_e32 v8, 2, v3
	s_mov_b32 s9, exec_lo
	s_waitcnt lgkmcnt(0)
	v_cndmask_b32_e64 v5, 0, 2, vcc_lo
	v_add_lshl_u32 v5, v5, v3, 2
	ds_bpermute_b32 v7, v5, v6
	ds_bpermute_b32 v5, v5, v2
	v_cmpx_lt_u32_e64 v8, v4
	s_cbranch_execz .LBB28_13
; %bb.12:
	s_waitcnt lgkmcnt(1)
	v_add_co_u32 v6, vcc_lo, v1, v7
	v_add_co_ci_u32_e64 v2, null, 0, v2, vcc_lo
	v_add_co_u32 v1, vcc_lo, 0, v6
	s_waitcnt lgkmcnt(0)
	v_add_co_ci_u32_e64 v2, null, v5, v2, vcc_lo
.LBB28_13:
	s_or_b32 exec_lo, exec_lo, s9
	v_cmp_gt_u32_e32 vcc_lo, 28, v3
	v_add_nc_u32_e32 v8, 4, v3
	s_mov_b32 s9, exec_lo
	s_waitcnt lgkmcnt(0)
	v_cndmask_b32_e64 v5, 0, 4, vcc_lo
	v_add_lshl_u32 v5, v5, v3, 2
	ds_bpermute_b32 v7, v5, v6
	ds_bpermute_b32 v5, v5, v2
	v_cmpx_lt_u32_e64 v8, v4
	;; [unrolled: 19-line block ×3, first 2 shown]
	s_cbranch_execz .LBB28_17
; %bb.16:
	s_waitcnt lgkmcnt(1)
	v_add_co_u32 v6, vcc_lo, v1, v7
	v_add_co_ci_u32_e64 v2, null, 0, v2, vcc_lo
	v_add_co_u32 v1, vcc_lo, 0, v6
	s_waitcnt lgkmcnt(0)
	v_add_co_ci_u32_e64 v2, null, v5, v2, vcc_lo
.LBB28_17:
	s_or_b32 exec_lo, exec_lo, s9
	s_waitcnt lgkmcnt(0)
	v_lshlrev_b32_e32 v5, 2, v3
	s_mov_b32 s9, exec_lo
	v_or_b32_e32 v8, 64, v5
	ds_bpermute_b32 v7, v8, v6
	ds_bpermute_b32 v6, v8, v2
	v_add_nc_u32_e32 v8, 16, v3
	v_cmpx_lt_u32_e64 v8, v4
	s_cbranch_execz .LBB28_19
; %bb.18:
	s_waitcnt lgkmcnt(1)
	v_add_co_u32 v1, vcc_lo, v1, v7
	v_add_co_ci_u32_e64 v2, null, 0, v2, vcc_lo
	v_add_co_u32 v1, vcc_lo, v1, 0
	s_waitcnt lgkmcnt(0)
	v_add_co_ci_u32_e64 v2, null, v2, v6, vcc_lo
.LBB28_19:
	s_or_b32 exec_lo, exec_lo, s9
	s_mov_b32 s9, exec_lo
	v_cmpx_eq_u32_e32 0, v3
; %bb.20:
	v_lshrrev_b32_e32 v4, 2, v0
	v_and_b32_e32 v4, 56, v4
	ds_write_b64 v4, v[1:2] offset:64
; %bb.21:
	s_or_b32 exec_lo, exec_lo, s9
	s_mov_b32 s9, exec_lo
	s_waitcnt lgkmcnt(0)
	s_barrier
	buffer_gl0_inv
	v_cmpx_gt_u32_e32 8, v0
	s_cbranch_execz .LBB28_29
; %bb.22:
	v_lshlrev_b32_e32 v1, 3, v3
	v_and_b32_e32 v4, 7, v3
	s_add_i32 s8, s8, 31
	s_lshr_b32 s8, s8, 5
	ds_read_b64 v[1:2], v1 offset:64
	v_cmp_ne_u32_e32 vcc_lo, 7, v4
	v_add_co_ci_u32_e64 v6, null, 0, v3, vcc_lo
	v_lshlrev_b32_e32 v6, 2, v6
	s_waitcnt lgkmcnt(0)
	ds_bpermute_b32 v8, v6, v1
	ds_bpermute_b32 v7, v6, v2
	v_add_nc_u32_e32 v6, 1, v4
	v_cmp_gt_u32_e32 vcc_lo, s8, v6
	v_mov_b32_e32 v6, v1
	s_and_saveexec_b32 s10, vcc_lo
	s_cbranch_execz .LBB28_24
; %bb.23:
	s_waitcnt lgkmcnt(1)
	v_add_co_u32 v6, vcc_lo, v1, v8
	v_add_co_ci_u32_e64 v2, null, 0, v2, vcc_lo
	v_add_co_u32 v1, vcc_lo, 0, v6
	s_waitcnt lgkmcnt(0)
	v_add_co_ci_u32_e64 v2, null, v7, v2, vcc_lo
.LBB28_24:
	s_or_b32 exec_lo, exec_lo, s10
	v_cmp_gt_u32_e32 vcc_lo, 6, v4
	s_waitcnt lgkmcnt(1)
	v_add_nc_u32_e32 v8, 2, v4
	s_mov_b32 s10, exec_lo
	s_waitcnt lgkmcnt(0)
	v_cndmask_b32_e64 v7, 0, 2, vcc_lo
	v_add_lshl_u32 v3, v7, v3, 2
	ds_bpermute_b32 v7, v3, v6
	ds_bpermute_b32 v3, v3, v2
	v_cmpx_gt_u32_e64 s8, v8
	s_cbranch_execz .LBB28_26
; %bb.25:
	s_waitcnt lgkmcnt(1)
	v_add_co_u32 v6, vcc_lo, v1, v7
	v_add_co_ci_u32_e64 v2, null, 0, v2, vcc_lo
	v_add_co_u32 v1, vcc_lo, 0, v6
	s_waitcnt lgkmcnt(0)
	v_add_co_ci_u32_e64 v2, null, v3, v2, vcc_lo
.LBB28_26:
	s_or_b32 exec_lo, exec_lo, s10
	s_waitcnt lgkmcnt(0)
	v_or_b32_e32 v3, 16, v5
	v_add_nc_u32_e32 v4, 4, v4
	ds_bpermute_b32 v5, v3, v6
	ds_bpermute_b32 v3, v3, v2
	v_cmp_gt_u32_e32 vcc_lo, s8, v4
	s_and_saveexec_b32 s8, vcc_lo
	s_cbranch_execz .LBB28_28
; %bb.27:
	s_waitcnt lgkmcnt(1)
	v_add_co_u32 v1, vcc_lo, v1, v5
	v_add_co_ci_u32_e64 v2, null, 0, v2, vcc_lo
	v_add_co_u32 v1, vcc_lo, v1, 0
	s_waitcnt lgkmcnt(0)
	v_add_co_ci_u32_e64 v2, null, v2, v3, vcc_lo
.LBB28_28:
	s_or_b32 exec_lo, exec_lo, s8
.LBB28_29:
	s_or_b32 exec_lo, exec_lo, s9
.LBB28_30:
	s_mov_b32 s8, exec_lo
	v_cmpx_eq_u32_e32 0, v0
	s_cbranch_execz .LBB28_32
; %bb.31:
	s_mul_i32 s1, s2, s1
	s_mul_hi_u32 s8, s2, s0
	s_mul_i32 s3, s3, s0
	s_add_i32 s1, s8, s1
	s_mul_i32 s0, s2, s0
	s_add_i32 s1, s1, s3
	v_mov_b32_e32 v0, 0
	s_lshl_b64 s[0:1], s[0:1], 3
	s_add_u32 s2, s14, s0
	s_addc_u32 s3, s15, s1
	s_cmp_eq_u64 s[12:13], 0
	s_cselect_b32 s8, -1, 0
	s_lshl_b64 s[0:1], s[6:7], 3
	v_cndmask_b32_e64 v2, v2, s5, s8
	v_cndmask_b32_e64 v1, v1, s4, s8
	s_add_u32 s0, s2, s0
	s_addc_u32 s1, s3, s1
	global_store_dwordx2 v0, v[1:2], s[0:1]
.LBB28_32:
	s_endpgm
	.section	.rodata,"a",@progbits
	.p2align	6, 0x0
	.amdhsa_kernel _ZN7rocprim17ROCPRIM_400000_NS6detail17trampoline_kernelINS0_14default_configENS1_22reduce_config_selectorImEEZNS1_11reduce_implILb1ES3_PmS7_mN6thrust23THRUST_200600_302600_NS4plusImEEEE10hipError_tPvRmT1_T2_T3_mT4_P12ihipStream_tbEUlT_E0_NS1_11comp_targetILNS1_3genE8ELNS1_11target_archE1030ELNS1_3gpuE2ELNS1_3repE0EEENS1_30default_config_static_selectorELNS0_4arch9wavefront6targetE0EEEvSF_
		.amdhsa_group_segment_fixed_size 128
		.amdhsa_private_segment_fixed_size 0
		.amdhsa_kernarg_size 64
		.amdhsa_user_sgpr_count 6
		.amdhsa_user_sgpr_private_segment_buffer 1
		.amdhsa_user_sgpr_dispatch_ptr 0
		.amdhsa_user_sgpr_queue_ptr 0
		.amdhsa_user_sgpr_kernarg_segment_ptr 1
		.amdhsa_user_sgpr_dispatch_id 0
		.amdhsa_user_sgpr_flat_scratch_init 0
		.amdhsa_user_sgpr_private_segment_size 0
		.amdhsa_wavefront_size32 1
		.amdhsa_uses_dynamic_stack 0
		.amdhsa_system_sgpr_private_segment_wavefront_offset 0
		.amdhsa_system_sgpr_workgroup_id_x 1
		.amdhsa_system_sgpr_workgroup_id_y 0
		.amdhsa_system_sgpr_workgroup_id_z 0
		.amdhsa_system_sgpr_workgroup_info 0
		.amdhsa_system_vgpr_workitem_id 0
		.amdhsa_next_free_vgpr 9
		.amdhsa_next_free_sgpr 18
		.amdhsa_reserve_vcc 1
		.amdhsa_reserve_flat_scratch 0
		.amdhsa_float_round_mode_32 0
		.amdhsa_float_round_mode_16_64 0
		.amdhsa_float_denorm_mode_32 3
		.amdhsa_float_denorm_mode_16_64 3
		.amdhsa_dx10_clamp 1
		.amdhsa_ieee_mode 1
		.amdhsa_fp16_overflow 0
		.amdhsa_workgroup_processor_mode 1
		.amdhsa_memory_ordered 1
		.amdhsa_forward_progress 1
		.amdhsa_shared_vgpr_count 0
		.amdhsa_exception_fp_ieee_invalid_op 0
		.amdhsa_exception_fp_denorm_src 0
		.amdhsa_exception_fp_ieee_div_zero 0
		.amdhsa_exception_fp_ieee_overflow 0
		.amdhsa_exception_fp_ieee_underflow 0
		.amdhsa_exception_fp_ieee_inexact 0
		.amdhsa_exception_int_div_zero 0
	.end_amdhsa_kernel
	.section	.text._ZN7rocprim17ROCPRIM_400000_NS6detail17trampoline_kernelINS0_14default_configENS1_22reduce_config_selectorImEEZNS1_11reduce_implILb1ES3_PmS7_mN6thrust23THRUST_200600_302600_NS4plusImEEEE10hipError_tPvRmT1_T2_T3_mT4_P12ihipStream_tbEUlT_E0_NS1_11comp_targetILNS1_3genE8ELNS1_11target_archE1030ELNS1_3gpuE2ELNS1_3repE0EEENS1_30default_config_static_selectorELNS0_4arch9wavefront6targetE0EEEvSF_,"axG",@progbits,_ZN7rocprim17ROCPRIM_400000_NS6detail17trampoline_kernelINS0_14default_configENS1_22reduce_config_selectorImEEZNS1_11reduce_implILb1ES3_PmS7_mN6thrust23THRUST_200600_302600_NS4plusImEEEE10hipError_tPvRmT1_T2_T3_mT4_P12ihipStream_tbEUlT_E0_NS1_11comp_targetILNS1_3genE8ELNS1_11target_archE1030ELNS1_3gpuE2ELNS1_3repE0EEENS1_30default_config_static_selectorELNS0_4arch9wavefront6targetE0EEEvSF_,comdat
.Lfunc_end28:
	.size	_ZN7rocprim17ROCPRIM_400000_NS6detail17trampoline_kernelINS0_14default_configENS1_22reduce_config_selectorImEEZNS1_11reduce_implILb1ES3_PmS7_mN6thrust23THRUST_200600_302600_NS4plusImEEEE10hipError_tPvRmT1_T2_T3_mT4_P12ihipStream_tbEUlT_E0_NS1_11comp_targetILNS1_3genE8ELNS1_11target_archE1030ELNS1_3gpuE2ELNS1_3repE0EEENS1_30default_config_static_selectorELNS0_4arch9wavefront6targetE0EEEvSF_, .Lfunc_end28-_ZN7rocprim17ROCPRIM_400000_NS6detail17trampoline_kernelINS0_14default_configENS1_22reduce_config_selectorImEEZNS1_11reduce_implILb1ES3_PmS7_mN6thrust23THRUST_200600_302600_NS4plusImEEEE10hipError_tPvRmT1_T2_T3_mT4_P12ihipStream_tbEUlT_E0_NS1_11comp_targetILNS1_3genE8ELNS1_11target_archE1030ELNS1_3gpuE2ELNS1_3repE0EEENS1_30default_config_static_selectorELNS0_4arch9wavefront6targetE0EEEvSF_
                                        ; -- End function
	.set _ZN7rocprim17ROCPRIM_400000_NS6detail17trampoline_kernelINS0_14default_configENS1_22reduce_config_selectorImEEZNS1_11reduce_implILb1ES3_PmS7_mN6thrust23THRUST_200600_302600_NS4plusImEEEE10hipError_tPvRmT1_T2_T3_mT4_P12ihipStream_tbEUlT_E0_NS1_11comp_targetILNS1_3genE8ELNS1_11target_archE1030ELNS1_3gpuE2ELNS1_3repE0EEENS1_30default_config_static_selectorELNS0_4arch9wavefront6targetE0EEEvSF_.num_vgpr, 9
	.set _ZN7rocprim17ROCPRIM_400000_NS6detail17trampoline_kernelINS0_14default_configENS1_22reduce_config_selectorImEEZNS1_11reduce_implILb1ES3_PmS7_mN6thrust23THRUST_200600_302600_NS4plusImEEEE10hipError_tPvRmT1_T2_T3_mT4_P12ihipStream_tbEUlT_E0_NS1_11comp_targetILNS1_3genE8ELNS1_11target_archE1030ELNS1_3gpuE2ELNS1_3repE0EEENS1_30default_config_static_selectorELNS0_4arch9wavefront6targetE0EEEvSF_.num_agpr, 0
	.set _ZN7rocprim17ROCPRIM_400000_NS6detail17trampoline_kernelINS0_14default_configENS1_22reduce_config_selectorImEEZNS1_11reduce_implILb1ES3_PmS7_mN6thrust23THRUST_200600_302600_NS4plusImEEEE10hipError_tPvRmT1_T2_T3_mT4_P12ihipStream_tbEUlT_E0_NS1_11comp_targetILNS1_3genE8ELNS1_11target_archE1030ELNS1_3gpuE2ELNS1_3repE0EEENS1_30default_config_static_selectorELNS0_4arch9wavefront6targetE0EEEvSF_.numbered_sgpr, 18
	.set _ZN7rocprim17ROCPRIM_400000_NS6detail17trampoline_kernelINS0_14default_configENS1_22reduce_config_selectorImEEZNS1_11reduce_implILb1ES3_PmS7_mN6thrust23THRUST_200600_302600_NS4plusImEEEE10hipError_tPvRmT1_T2_T3_mT4_P12ihipStream_tbEUlT_E0_NS1_11comp_targetILNS1_3genE8ELNS1_11target_archE1030ELNS1_3gpuE2ELNS1_3repE0EEENS1_30default_config_static_selectorELNS0_4arch9wavefront6targetE0EEEvSF_.num_named_barrier, 0
	.set _ZN7rocprim17ROCPRIM_400000_NS6detail17trampoline_kernelINS0_14default_configENS1_22reduce_config_selectorImEEZNS1_11reduce_implILb1ES3_PmS7_mN6thrust23THRUST_200600_302600_NS4plusImEEEE10hipError_tPvRmT1_T2_T3_mT4_P12ihipStream_tbEUlT_E0_NS1_11comp_targetILNS1_3genE8ELNS1_11target_archE1030ELNS1_3gpuE2ELNS1_3repE0EEENS1_30default_config_static_selectorELNS0_4arch9wavefront6targetE0EEEvSF_.private_seg_size, 0
	.set _ZN7rocprim17ROCPRIM_400000_NS6detail17trampoline_kernelINS0_14default_configENS1_22reduce_config_selectorImEEZNS1_11reduce_implILb1ES3_PmS7_mN6thrust23THRUST_200600_302600_NS4plusImEEEE10hipError_tPvRmT1_T2_T3_mT4_P12ihipStream_tbEUlT_E0_NS1_11comp_targetILNS1_3genE8ELNS1_11target_archE1030ELNS1_3gpuE2ELNS1_3repE0EEENS1_30default_config_static_selectorELNS0_4arch9wavefront6targetE0EEEvSF_.uses_vcc, 1
	.set _ZN7rocprim17ROCPRIM_400000_NS6detail17trampoline_kernelINS0_14default_configENS1_22reduce_config_selectorImEEZNS1_11reduce_implILb1ES3_PmS7_mN6thrust23THRUST_200600_302600_NS4plusImEEEE10hipError_tPvRmT1_T2_T3_mT4_P12ihipStream_tbEUlT_E0_NS1_11comp_targetILNS1_3genE8ELNS1_11target_archE1030ELNS1_3gpuE2ELNS1_3repE0EEENS1_30default_config_static_selectorELNS0_4arch9wavefront6targetE0EEEvSF_.uses_flat_scratch, 0
	.set _ZN7rocprim17ROCPRIM_400000_NS6detail17trampoline_kernelINS0_14default_configENS1_22reduce_config_selectorImEEZNS1_11reduce_implILb1ES3_PmS7_mN6thrust23THRUST_200600_302600_NS4plusImEEEE10hipError_tPvRmT1_T2_T3_mT4_P12ihipStream_tbEUlT_E0_NS1_11comp_targetILNS1_3genE8ELNS1_11target_archE1030ELNS1_3gpuE2ELNS1_3repE0EEENS1_30default_config_static_selectorELNS0_4arch9wavefront6targetE0EEEvSF_.has_dyn_sized_stack, 0
	.set _ZN7rocprim17ROCPRIM_400000_NS6detail17trampoline_kernelINS0_14default_configENS1_22reduce_config_selectorImEEZNS1_11reduce_implILb1ES3_PmS7_mN6thrust23THRUST_200600_302600_NS4plusImEEEE10hipError_tPvRmT1_T2_T3_mT4_P12ihipStream_tbEUlT_E0_NS1_11comp_targetILNS1_3genE8ELNS1_11target_archE1030ELNS1_3gpuE2ELNS1_3repE0EEENS1_30default_config_static_selectorELNS0_4arch9wavefront6targetE0EEEvSF_.has_recursion, 0
	.set _ZN7rocprim17ROCPRIM_400000_NS6detail17trampoline_kernelINS0_14default_configENS1_22reduce_config_selectorImEEZNS1_11reduce_implILb1ES3_PmS7_mN6thrust23THRUST_200600_302600_NS4plusImEEEE10hipError_tPvRmT1_T2_T3_mT4_P12ihipStream_tbEUlT_E0_NS1_11comp_targetILNS1_3genE8ELNS1_11target_archE1030ELNS1_3gpuE2ELNS1_3repE0EEENS1_30default_config_static_selectorELNS0_4arch9wavefront6targetE0EEEvSF_.has_indirect_call, 0
	.section	.AMDGPU.csdata,"",@progbits
; Kernel info:
; codeLenInByte = 1720
; TotalNumSgprs: 20
; NumVgprs: 9
; ScratchSize: 0
; MemoryBound: 0
; FloatMode: 240
; IeeeMode: 1
; LDSByteSize: 128 bytes/workgroup (compile time only)
; SGPRBlocks: 0
; VGPRBlocks: 1
; NumSGPRsForWavesPerEU: 20
; NumVGPRsForWavesPerEU: 9
; Occupancy: 16
; WaveLimiterHint : 0
; COMPUTE_PGM_RSRC2:SCRATCH_EN: 0
; COMPUTE_PGM_RSRC2:USER_SGPR: 6
; COMPUTE_PGM_RSRC2:TRAP_HANDLER: 0
; COMPUTE_PGM_RSRC2:TGID_X_EN: 1
; COMPUTE_PGM_RSRC2:TGID_Y_EN: 0
; COMPUTE_PGM_RSRC2:TGID_Z_EN: 0
; COMPUTE_PGM_RSRC2:TIDIG_COMP_CNT: 0
	.section	.text._ZN7rocprim17ROCPRIM_400000_NS6detail17trampoline_kernelINS0_14default_configENS1_22reduce_config_selectorImEEZNS1_11reduce_implILb1ES3_PmS7_mN6thrust23THRUST_200600_302600_NS4plusImEEEE10hipError_tPvRmT1_T2_T3_mT4_P12ihipStream_tbEUlT_E1_NS1_11comp_targetILNS1_3genE0ELNS1_11target_archE4294967295ELNS1_3gpuE0ELNS1_3repE0EEENS1_30default_config_static_selectorELNS0_4arch9wavefront6targetE0EEEvSF_,"axG",@progbits,_ZN7rocprim17ROCPRIM_400000_NS6detail17trampoline_kernelINS0_14default_configENS1_22reduce_config_selectorImEEZNS1_11reduce_implILb1ES3_PmS7_mN6thrust23THRUST_200600_302600_NS4plusImEEEE10hipError_tPvRmT1_T2_T3_mT4_P12ihipStream_tbEUlT_E1_NS1_11comp_targetILNS1_3genE0ELNS1_11target_archE4294967295ELNS1_3gpuE0ELNS1_3repE0EEENS1_30default_config_static_selectorELNS0_4arch9wavefront6targetE0EEEvSF_,comdat
	.protected	_ZN7rocprim17ROCPRIM_400000_NS6detail17trampoline_kernelINS0_14default_configENS1_22reduce_config_selectorImEEZNS1_11reduce_implILb1ES3_PmS7_mN6thrust23THRUST_200600_302600_NS4plusImEEEE10hipError_tPvRmT1_T2_T3_mT4_P12ihipStream_tbEUlT_E1_NS1_11comp_targetILNS1_3genE0ELNS1_11target_archE4294967295ELNS1_3gpuE0ELNS1_3repE0EEENS1_30default_config_static_selectorELNS0_4arch9wavefront6targetE0EEEvSF_ ; -- Begin function _ZN7rocprim17ROCPRIM_400000_NS6detail17trampoline_kernelINS0_14default_configENS1_22reduce_config_selectorImEEZNS1_11reduce_implILb1ES3_PmS7_mN6thrust23THRUST_200600_302600_NS4plusImEEEE10hipError_tPvRmT1_T2_T3_mT4_P12ihipStream_tbEUlT_E1_NS1_11comp_targetILNS1_3genE0ELNS1_11target_archE4294967295ELNS1_3gpuE0ELNS1_3repE0EEENS1_30default_config_static_selectorELNS0_4arch9wavefront6targetE0EEEvSF_
	.globl	_ZN7rocprim17ROCPRIM_400000_NS6detail17trampoline_kernelINS0_14default_configENS1_22reduce_config_selectorImEEZNS1_11reduce_implILb1ES3_PmS7_mN6thrust23THRUST_200600_302600_NS4plusImEEEE10hipError_tPvRmT1_T2_T3_mT4_P12ihipStream_tbEUlT_E1_NS1_11comp_targetILNS1_3genE0ELNS1_11target_archE4294967295ELNS1_3gpuE0ELNS1_3repE0EEENS1_30default_config_static_selectorELNS0_4arch9wavefront6targetE0EEEvSF_
	.p2align	8
	.type	_ZN7rocprim17ROCPRIM_400000_NS6detail17trampoline_kernelINS0_14default_configENS1_22reduce_config_selectorImEEZNS1_11reduce_implILb1ES3_PmS7_mN6thrust23THRUST_200600_302600_NS4plusImEEEE10hipError_tPvRmT1_T2_T3_mT4_P12ihipStream_tbEUlT_E1_NS1_11comp_targetILNS1_3genE0ELNS1_11target_archE4294967295ELNS1_3gpuE0ELNS1_3repE0EEENS1_30default_config_static_selectorELNS0_4arch9wavefront6targetE0EEEvSF_,@function
_ZN7rocprim17ROCPRIM_400000_NS6detail17trampoline_kernelINS0_14default_configENS1_22reduce_config_selectorImEEZNS1_11reduce_implILb1ES3_PmS7_mN6thrust23THRUST_200600_302600_NS4plusImEEEE10hipError_tPvRmT1_T2_T3_mT4_P12ihipStream_tbEUlT_E1_NS1_11comp_targetILNS1_3genE0ELNS1_11target_archE4294967295ELNS1_3gpuE0ELNS1_3repE0EEENS1_30default_config_static_selectorELNS0_4arch9wavefront6targetE0EEEvSF_: ; @_ZN7rocprim17ROCPRIM_400000_NS6detail17trampoline_kernelINS0_14default_configENS1_22reduce_config_selectorImEEZNS1_11reduce_implILb1ES3_PmS7_mN6thrust23THRUST_200600_302600_NS4plusImEEEE10hipError_tPvRmT1_T2_T3_mT4_P12ihipStream_tbEUlT_E1_NS1_11comp_targetILNS1_3genE0ELNS1_11target_archE4294967295ELNS1_3gpuE0ELNS1_3repE0EEENS1_30default_config_static_selectorELNS0_4arch9wavefront6targetE0EEEvSF_
; %bb.0:
	.section	.rodata,"a",@progbits
	.p2align	6, 0x0
	.amdhsa_kernel _ZN7rocprim17ROCPRIM_400000_NS6detail17trampoline_kernelINS0_14default_configENS1_22reduce_config_selectorImEEZNS1_11reduce_implILb1ES3_PmS7_mN6thrust23THRUST_200600_302600_NS4plusImEEEE10hipError_tPvRmT1_T2_T3_mT4_P12ihipStream_tbEUlT_E1_NS1_11comp_targetILNS1_3genE0ELNS1_11target_archE4294967295ELNS1_3gpuE0ELNS1_3repE0EEENS1_30default_config_static_selectorELNS0_4arch9wavefront6targetE0EEEvSF_
		.amdhsa_group_segment_fixed_size 0
		.amdhsa_private_segment_fixed_size 0
		.amdhsa_kernarg_size 48
		.amdhsa_user_sgpr_count 6
		.amdhsa_user_sgpr_private_segment_buffer 1
		.amdhsa_user_sgpr_dispatch_ptr 0
		.amdhsa_user_sgpr_queue_ptr 0
		.amdhsa_user_sgpr_kernarg_segment_ptr 1
		.amdhsa_user_sgpr_dispatch_id 0
		.amdhsa_user_sgpr_flat_scratch_init 0
		.amdhsa_user_sgpr_private_segment_size 0
		.amdhsa_wavefront_size32 1
		.amdhsa_uses_dynamic_stack 0
		.amdhsa_system_sgpr_private_segment_wavefront_offset 0
		.amdhsa_system_sgpr_workgroup_id_x 1
		.amdhsa_system_sgpr_workgroup_id_y 0
		.amdhsa_system_sgpr_workgroup_id_z 0
		.amdhsa_system_sgpr_workgroup_info 0
		.amdhsa_system_vgpr_workitem_id 0
		.amdhsa_next_free_vgpr 1
		.amdhsa_next_free_sgpr 1
		.amdhsa_reserve_vcc 0
		.amdhsa_reserve_flat_scratch 0
		.amdhsa_float_round_mode_32 0
		.amdhsa_float_round_mode_16_64 0
		.amdhsa_float_denorm_mode_32 3
		.amdhsa_float_denorm_mode_16_64 3
		.amdhsa_dx10_clamp 1
		.amdhsa_ieee_mode 1
		.amdhsa_fp16_overflow 0
		.amdhsa_workgroup_processor_mode 1
		.amdhsa_memory_ordered 1
		.amdhsa_forward_progress 1
		.amdhsa_shared_vgpr_count 0
		.amdhsa_exception_fp_ieee_invalid_op 0
		.amdhsa_exception_fp_denorm_src 0
		.amdhsa_exception_fp_ieee_div_zero 0
		.amdhsa_exception_fp_ieee_overflow 0
		.amdhsa_exception_fp_ieee_underflow 0
		.amdhsa_exception_fp_ieee_inexact 0
		.amdhsa_exception_int_div_zero 0
	.end_amdhsa_kernel
	.section	.text._ZN7rocprim17ROCPRIM_400000_NS6detail17trampoline_kernelINS0_14default_configENS1_22reduce_config_selectorImEEZNS1_11reduce_implILb1ES3_PmS7_mN6thrust23THRUST_200600_302600_NS4plusImEEEE10hipError_tPvRmT1_T2_T3_mT4_P12ihipStream_tbEUlT_E1_NS1_11comp_targetILNS1_3genE0ELNS1_11target_archE4294967295ELNS1_3gpuE0ELNS1_3repE0EEENS1_30default_config_static_selectorELNS0_4arch9wavefront6targetE0EEEvSF_,"axG",@progbits,_ZN7rocprim17ROCPRIM_400000_NS6detail17trampoline_kernelINS0_14default_configENS1_22reduce_config_selectorImEEZNS1_11reduce_implILb1ES3_PmS7_mN6thrust23THRUST_200600_302600_NS4plusImEEEE10hipError_tPvRmT1_T2_T3_mT4_P12ihipStream_tbEUlT_E1_NS1_11comp_targetILNS1_3genE0ELNS1_11target_archE4294967295ELNS1_3gpuE0ELNS1_3repE0EEENS1_30default_config_static_selectorELNS0_4arch9wavefront6targetE0EEEvSF_,comdat
.Lfunc_end29:
	.size	_ZN7rocprim17ROCPRIM_400000_NS6detail17trampoline_kernelINS0_14default_configENS1_22reduce_config_selectorImEEZNS1_11reduce_implILb1ES3_PmS7_mN6thrust23THRUST_200600_302600_NS4plusImEEEE10hipError_tPvRmT1_T2_T3_mT4_P12ihipStream_tbEUlT_E1_NS1_11comp_targetILNS1_3genE0ELNS1_11target_archE4294967295ELNS1_3gpuE0ELNS1_3repE0EEENS1_30default_config_static_selectorELNS0_4arch9wavefront6targetE0EEEvSF_, .Lfunc_end29-_ZN7rocprim17ROCPRIM_400000_NS6detail17trampoline_kernelINS0_14default_configENS1_22reduce_config_selectorImEEZNS1_11reduce_implILb1ES3_PmS7_mN6thrust23THRUST_200600_302600_NS4plusImEEEE10hipError_tPvRmT1_T2_T3_mT4_P12ihipStream_tbEUlT_E1_NS1_11comp_targetILNS1_3genE0ELNS1_11target_archE4294967295ELNS1_3gpuE0ELNS1_3repE0EEENS1_30default_config_static_selectorELNS0_4arch9wavefront6targetE0EEEvSF_
                                        ; -- End function
	.set _ZN7rocprim17ROCPRIM_400000_NS6detail17trampoline_kernelINS0_14default_configENS1_22reduce_config_selectorImEEZNS1_11reduce_implILb1ES3_PmS7_mN6thrust23THRUST_200600_302600_NS4plusImEEEE10hipError_tPvRmT1_T2_T3_mT4_P12ihipStream_tbEUlT_E1_NS1_11comp_targetILNS1_3genE0ELNS1_11target_archE4294967295ELNS1_3gpuE0ELNS1_3repE0EEENS1_30default_config_static_selectorELNS0_4arch9wavefront6targetE0EEEvSF_.num_vgpr, 0
	.set _ZN7rocprim17ROCPRIM_400000_NS6detail17trampoline_kernelINS0_14default_configENS1_22reduce_config_selectorImEEZNS1_11reduce_implILb1ES3_PmS7_mN6thrust23THRUST_200600_302600_NS4plusImEEEE10hipError_tPvRmT1_T2_T3_mT4_P12ihipStream_tbEUlT_E1_NS1_11comp_targetILNS1_3genE0ELNS1_11target_archE4294967295ELNS1_3gpuE0ELNS1_3repE0EEENS1_30default_config_static_selectorELNS0_4arch9wavefront6targetE0EEEvSF_.num_agpr, 0
	.set _ZN7rocprim17ROCPRIM_400000_NS6detail17trampoline_kernelINS0_14default_configENS1_22reduce_config_selectorImEEZNS1_11reduce_implILb1ES3_PmS7_mN6thrust23THRUST_200600_302600_NS4plusImEEEE10hipError_tPvRmT1_T2_T3_mT4_P12ihipStream_tbEUlT_E1_NS1_11comp_targetILNS1_3genE0ELNS1_11target_archE4294967295ELNS1_3gpuE0ELNS1_3repE0EEENS1_30default_config_static_selectorELNS0_4arch9wavefront6targetE0EEEvSF_.numbered_sgpr, 0
	.set _ZN7rocprim17ROCPRIM_400000_NS6detail17trampoline_kernelINS0_14default_configENS1_22reduce_config_selectorImEEZNS1_11reduce_implILb1ES3_PmS7_mN6thrust23THRUST_200600_302600_NS4plusImEEEE10hipError_tPvRmT1_T2_T3_mT4_P12ihipStream_tbEUlT_E1_NS1_11comp_targetILNS1_3genE0ELNS1_11target_archE4294967295ELNS1_3gpuE0ELNS1_3repE0EEENS1_30default_config_static_selectorELNS0_4arch9wavefront6targetE0EEEvSF_.num_named_barrier, 0
	.set _ZN7rocprim17ROCPRIM_400000_NS6detail17trampoline_kernelINS0_14default_configENS1_22reduce_config_selectorImEEZNS1_11reduce_implILb1ES3_PmS7_mN6thrust23THRUST_200600_302600_NS4plusImEEEE10hipError_tPvRmT1_T2_T3_mT4_P12ihipStream_tbEUlT_E1_NS1_11comp_targetILNS1_3genE0ELNS1_11target_archE4294967295ELNS1_3gpuE0ELNS1_3repE0EEENS1_30default_config_static_selectorELNS0_4arch9wavefront6targetE0EEEvSF_.private_seg_size, 0
	.set _ZN7rocprim17ROCPRIM_400000_NS6detail17trampoline_kernelINS0_14default_configENS1_22reduce_config_selectorImEEZNS1_11reduce_implILb1ES3_PmS7_mN6thrust23THRUST_200600_302600_NS4plusImEEEE10hipError_tPvRmT1_T2_T3_mT4_P12ihipStream_tbEUlT_E1_NS1_11comp_targetILNS1_3genE0ELNS1_11target_archE4294967295ELNS1_3gpuE0ELNS1_3repE0EEENS1_30default_config_static_selectorELNS0_4arch9wavefront6targetE0EEEvSF_.uses_vcc, 0
	.set _ZN7rocprim17ROCPRIM_400000_NS6detail17trampoline_kernelINS0_14default_configENS1_22reduce_config_selectorImEEZNS1_11reduce_implILb1ES3_PmS7_mN6thrust23THRUST_200600_302600_NS4plusImEEEE10hipError_tPvRmT1_T2_T3_mT4_P12ihipStream_tbEUlT_E1_NS1_11comp_targetILNS1_3genE0ELNS1_11target_archE4294967295ELNS1_3gpuE0ELNS1_3repE0EEENS1_30default_config_static_selectorELNS0_4arch9wavefront6targetE0EEEvSF_.uses_flat_scratch, 0
	.set _ZN7rocprim17ROCPRIM_400000_NS6detail17trampoline_kernelINS0_14default_configENS1_22reduce_config_selectorImEEZNS1_11reduce_implILb1ES3_PmS7_mN6thrust23THRUST_200600_302600_NS4plusImEEEE10hipError_tPvRmT1_T2_T3_mT4_P12ihipStream_tbEUlT_E1_NS1_11comp_targetILNS1_3genE0ELNS1_11target_archE4294967295ELNS1_3gpuE0ELNS1_3repE0EEENS1_30default_config_static_selectorELNS0_4arch9wavefront6targetE0EEEvSF_.has_dyn_sized_stack, 0
	.set _ZN7rocprim17ROCPRIM_400000_NS6detail17trampoline_kernelINS0_14default_configENS1_22reduce_config_selectorImEEZNS1_11reduce_implILb1ES3_PmS7_mN6thrust23THRUST_200600_302600_NS4plusImEEEE10hipError_tPvRmT1_T2_T3_mT4_P12ihipStream_tbEUlT_E1_NS1_11comp_targetILNS1_3genE0ELNS1_11target_archE4294967295ELNS1_3gpuE0ELNS1_3repE0EEENS1_30default_config_static_selectorELNS0_4arch9wavefront6targetE0EEEvSF_.has_recursion, 0
	.set _ZN7rocprim17ROCPRIM_400000_NS6detail17trampoline_kernelINS0_14default_configENS1_22reduce_config_selectorImEEZNS1_11reduce_implILb1ES3_PmS7_mN6thrust23THRUST_200600_302600_NS4plusImEEEE10hipError_tPvRmT1_T2_T3_mT4_P12ihipStream_tbEUlT_E1_NS1_11comp_targetILNS1_3genE0ELNS1_11target_archE4294967295ELNS1_3gpuE0ELNS1_3repE0EEENS1_30default_config_static_selectorELNS0_4arch9wavefront6targetE0EEEvSF_.has_indirect_call, 0
	.section	.AMDGPU.csdata,"",@progbits
; Kernel info:
; codeLenInByte = 0
; TotalNumSgprs: 0
; NumVgprs: 0
; ScratchSize: 0
; MemoryBound: 0
; FloatMode: 240
; IeeeMode: 1
; LDSByteSize: 0 bytes/workgroup (compile time only)
; SGPRBlocks: 0
; VGPRBlocks: 0
; NumSGPRsForWavesPerEU: 1
; NumVGPRsForWavesPerEU: 1
; Occupancy: 16
; WaveLimiterHint : 0
; COMPUTE_PGM_RSRC2:SCRATCH_EN: 0
; COMPUTE_PGM_RSRC2:USER_SGPR: 6
; COMPUTE_PGM_RSRC2:TRAP_HANDLER: 0
; COMPUTE_PGM_RSRC2:TGID_X_EN: 1
; COMPUTE_PGM_RSRC2:TGID_Y_EN: 0
; COMPUTE_PGM_RSRC2:TGID_Z_EN: 0
; COMPUTE_PGM_RSRC2:TIDIG_COMP_CNT: 0
	.section	.text._ZN7rocprim17ROCPRIM_400000_NS6detail17trampoline_kernelINS0_14default_configENS1_22reduce_config_selectorImEEZNS1_11reduce_implILb1ES3_PmS7_mN6thrust23THRUST_200600_302600_NS4plusImEEEE10hipError_tPvRmT1_T2_T3_mT4_P12ihipStream_tbEUlT_E1_NS1_11comp_targetILNS1_3genE5ELNS1_11target_archE942ELNS1_3gpuE9ELNS1_3repE0EEENS1_30default_config_static_selectorELNS0_4arch9wavefront6targetE0EEEvSF_,"axG",@progbits,_ZN7rocprim17ROCPRIM_400000_NS6detail17trampoline_kernelINS0_14default_configENS1_22reduce_config_selectorImEEZNS1_11reduce_implILb1ES3_PmS7_mN6thrust23THRUST_200600_302600_NS4plusImEEEE10hipError_tPvRmT1_T2_T3_mT4_P12ihipStream_tbEUlT_E1_NS1_11comp_targetILNS1_3genE5ELNS1_11target_archE942ELNS1_3gpuE9ELNS1_3repE0EEENS1_30default_config_static_selectorELNS0_4arch9wavefront6targetE0EEEvSF_,comdat
	.protected	_ZN7rocprim17ROCPRIM_400000_NS6detail17trampoline_kernelINS0_14default_configENS1_22reduce_config_selectorImEEZNS1_11reduce_implILb1ES3_PmS7_mN6thrust23THRUST_200600_302600_NS4plusImEEEE10hipError_tPvRmT1_T2_T3_mT4_P12ihipStream_tbEUlT_E1_NS1_11comp_targetILNS1_3genE5ELNS1_11target_archE942ELNS1_3gpuE9ELNS1_3repE0EEENS1_30default_config_static_selectorELNS0_4arch9wavefront6targetE0EEEvSF_ ; -- Begin function _ZN7rocprim17ROCPRIM_400000_NS6detail17trampoline_kernelINS0_14default_configENS1_22reduce_config_selectorImEEZNS1_11reduce_implILb1ES3_PmS7_mN6thrust23THRUST_200600_302600_NS4plusImEEEE10hipError_tPvRmT1_T2_T3_mT4_P12ihipStream_tbEUlT_E1_NS1_11comp_targetILNS1_3genE5ELNS1_11target_archE942ELNS1_3gpuE9ELNS1_3repE0EEENS1_30default_config_static_selectorELNS0_4arch9wavefront6targetE0EEEvSF_
	.globl	_ZN7rocprim17ROCPRIM_400000_NS6detail17trampoline_kernelINS0_14default_configENS1_22reduce_config_selectorImEEZNS1_11reduce_implILb1ES3_PmS7_mN6thrust23THRUST_200600_302600_NS4plusImEEEE10hipError_tPvRmT1_T2_T3_mT4_P12ihipStream_tbEUlT_E1_NS1_11comp_targetILNS1_3genE5ELNS1_11target_archE942ELNS1_3gpuE9ELNS1_3repE0EEENS1_30default_config_static_selectorELNS0_4arch9wavefront6targetE0EEEvSF_
	.p2align	8
	.type	_ZN7rocprim17ROCPRIM_400000_NS6detail17trampoline_kernelINS0_14default_configENS1_22reduce_config_selectorImEEZNS1_11reduce_implILb1ES3_PmS7_mN6thrust23THRUST_200600_302600_NS4plusImEEEE10hipError_tPvRmT1_T2_T3_mT4_P12ihipStream_tbEUlT_E1_NS1_11comp_targetILNS1_3genE5ELNS1_11target_archE942ELNS1_3gpuE9ELNS1_3repE0EEENS1_30default_config_static_selectorELNS0_4arch9wavefront6targetE0EEEvSF_,@function
_ZN7rocprim17ROCPRIM_400000_NS6detail17trampoline_kernelINS0_14default_configENS1_22reduce_config_selectorImEEZNS1_11reduce_implILb1ES3_PmS7_mN6thrust23THRUST_200600_302600_NS4plusImEEEE10hipError_tPvRmT1_T2_T3_mT4_P12ihipStream_tbEUlT_E1_NS1_11comp_targetILNS1_3genE5ELNS1_11target_archE942ELNS1_3gpuE9ELNS1_3repE0EEENS1_30default_config_static_selectorELNS0_4arch9wavefront6targetE0EEEvSF_: ; @_ZN7rocprim17ROCPRIM_400000_NS6detail17trampoline_kernelINS0_14default_configENS1_22reduce_config_selectorImEEZNS1_11reduce_implILb1ES3_PmS7_mN6thrust23THRUST_200600_302600_NS4plusImEEEE10hipError_tPvRmT1_T2_T3_mT4_P12ihipStream_tbEUlT_E1_NS1_11comp_targetILNS1_3genE5ELNS1_11target_archE942ELNS1_3gpuE9ELNS1_3repE0EEENS1_30default_config_static_selectorELNS0_4arch9wavefront6targetE0EEEvSF_
; %bb.0:
	.section	.rodata,"a",@progbits
	.p2align	6, 0x0
	.amdhsa_kernel _ZN7rocprim17ROCPRIM_400000_NS6detail17trampoline_kernelINS0_14default_configENS1_22reduce_config_selectorImEEZNS1_11reduce_implILb1ES3_PmS7_mN6thrust23THRUST_200600_302600_NS4plusImEEEE10hipError_tPvRmT1_T2_T3_mT4_P12ihipStream_tbEUlT_E1_NS1_11comp_targetILNS1_3genE5ELNS1_11target_archE942ELNS1_3gpuE9ELNS1_3repE0EEENS1_30default_config_static_selectorELNS0_4arch9wavefront6targetE0EEEvSF_
		.amdhsa_group_segment_fixed_size 0
		.amdhsa_private_segment_fixed_size 0
		.amdhsa_kernarg_size 48
		.amdhsa_user_sgpr_count 6
		.amdhsa_user_sgpr_private_segment_buffer 1
		.amdhsa_user_sgpr_dispatch_ptr 0
		.amdhsa_user_sgpr_queue_ptr 0
		.amdhsa_user_sgpr_kernarg_segment_ptr 1
		.amdhsa_user_sgpr_dispatch_id 0
		.amdhsa_user_sgpr_flat_scratch_init 0
		.amdhsa_user_sgpr_private_segment_size 0
		.amdhsa_wavefront_size32 1
		.amdhsa_uses_dynamic_stack 0
		.amdhsa_system_sgpr_private_segment_wavefront_offset 0
		.amdhsa_system_sgpr_workgroup_id_x 1
		.amdhsa_system_sgpr_workgroup_id_y 0
		.amdhsa_system_sgpr_workgroup_id_z 0
		.amdhsa_system_sgpr_workgroup_info 0
		.amdhsa_system_vgpr_workitem_id 0
		.amdhsa_next_free_vgpr 1
		.amdhsa_next_free_sgpr 1
		.amdhsa_reserve_vcc 0
		.amdhsa_reserve_flat_scratch 0
		.amdhsa_float_round_mode_32 0
		.amdhsa_float_round_mode_16_64 0
		.amdhsa_float_denorm_mode_32 3
		.amdhsa_float_denorm_mode_16_64 3
		.amdhsa_dx10_clamp 1
		.amdhsa_ieee_mode 1
		.amdhsa_fp16_overflow 0
		.amdhsa_workgroup_processor_mode 1
		.amdhsa_memory_ordered 1
		.amdhsa_forward_progress 1
		.amdhsa_shared_vgpr_count 0
		.amdhsa_exception_fp_ieee_invalid_op 0
		.amdhsa_exception_fp_denorm_src 0
		.amdhsa_exception_fp_ieee_div_zero 0
		.amdhsa_exception_fp_ieee_overflow 0
		.amdhsa_exception_fp_ieee_underflow 0
		.amdhsa_exception_fp_ieee_inexact 0
		.amdhsa_exception_int_div_zero 0
	.end_amdhsa_kernel
	.section	.text._ZN7rocprim17ROCPRIM_400000_NS6detail17trampoline_kernelINS0_14default_configENS1_22reduce_config_selectorImEEZNS1_11reduce_implILb1ES3_PmS7_mN6thrust23THRUST_200600_302600_NS4plusImEEEE10hipError_tPvRmT1_T2_T3_mT4_P12ihipStream_tbEUlT_E1_NS1_11comp_targetILNS1_3genE5ELNS1_11target_archE942ELNS1_3gpuE9ELNS1_3repE0EEENS1_30default_config_static_selectorELNS0_4arch9wavefront6targetE0EEEvSF_,"axG",@progbits,_ZN7rocprim17ROCPRIM_400000_NS6detail17trampoline_kernelINS0_14default_configENS1_22reduce_config_selectorImEEZNS1_11reduce_implILb1ES3_PmS7_mN6thrust23THRUST_200600_302600_NS4plusImEEEE10hipError_tPvRmT1_T2_T3_mT4_P12ihipStream_tbEUlT_E1_NS1_11comp_targetILNS1_3genE5ELNS1_11target_archE942ELNS1_3gpuE9ELNS1_3repE0EEENS1_30default_config_static_selectorELNS0_4arch9wavefront6targetE0EEEvSF_,comdat
.Lfunc_end30:
	.size	_ZN7rocprim17ROCPRIM_400000_NS6detail17trampoline_kernelINS0_14default_configENS1_22reduce_config_selectorImEEZNS1_11reduce_implILb1ES3_PmS7_mN6thrust23THRUST_200600_302600_NS4plusImEEEE10hipError_tPvRmT1_T2_T3_mT4_P12ihipStream_tbEUlT_E1_NS1_11comp_targetILNS1_3genE5ELNS1_11target_archE942ELNS1_3gpuE9ELNS1_3repE0EEENS1_30default_config_static_selectorELNS0_4arch9wavefront6targetE0EEEvSF_, .Lfunc_end30-_ZN7rocprim17ROCPRIM_400000_NS6detail17trampoline_kernelINS0_14default_configENS1_22reduce_config_selectorImEEZNS1_11reduce_implILb1ES3_PmS7_mN6thrust23THRUST_200600_302600_NS4plusImEEEE10hipError_tPvRmT1_T2_T3_mT4_P12ihipStream_tbEUlT_E1_NS1_11comp_targetILNS1_3genE5ELNS1_11target_archE942ELNS1_3gpuE9ELNS1_3repE0EEENS1_30default_config_static_selectorELNS0_4arch9wavefront6targetE0EEEvSF_
                                        ; -- End function
	.set _ZN7rocprim17ROCPRIM_400000_NS6detail17trampoline_kernelINS0_14default_configENS1_22reduce_config_selectorImEEZNS1_11reduce_implILb1ES3_PmS7_mN6thrust23THRUST_200600_302600_NS4plusImEEEE10hipError_tPvRmT1_T2_T3_mT4_P12ihipStream_tbEUlT_E1_NS1_11comp_targetILNS1_3genE5ELNS1_11target_archE942ELNS1_3gpuE9ELNS1_3repE0EEENS1_30default_config_static_selectorELNS0_4arch9wavefront6targetE0EEEvSF_.num_vgpr, 0
	.set _ZN7rocprim17ROCPRIM_400000_NS6detail17trampoline_kernelINS0_14default_configENS1_22reduce_config_selectorImEEZNS1_11reduce_implILb1ES3_PmS7_mN6thrust23THRUST_200600_302600_NS4plusImEEEE10hipError_tPvRmT1_T2_T3_mT4_P12ihipStream_tbEUlT_E1_NS1_11comp_targetILNS1_3genE5ELNS1_11target_archE942ELNS1_3gpuE9ELNS1_3repE0EEENS1_30default_config_static_selectorELNS0_4arch9wavefront6targetE0EEEvSF_.num_agpr, 0
	.set _ZN7rocprim17ROCPRIM_400000_NS6detail17trampoline_kernelINS0_14default_configENS1_22reduce_config_selectorImEEZNS1_11reduce_implILb1ES3_PmS7_mN6thrust23THRUST_200600_302600_NS4plusImEEEE10hipError_tPvRmT1_T2_T3_mT4_P12ihipStream_tbEUlT_E1_NS1_11comp_targetILNS1_3genE5ELNS1_11target_archE942ELNS1_3gpuE9ELNS1_3repE0EEENS1_30default_config_static_selectorELNS0_4arch9wavefront6targetE0EEEvSF_.numbered_sgpr, 0
	.set _ZN7rocprim17ROCPRIM_400000_NS6detail17trampoline_kernelINS0_14default_configENS1_22reduce_config_selectorImEEZNS1_11reduce_implILb1ES3_PmS7_mN6thrust23THRUST_200600_302600_NS4plusImEEEE10hipError_tPvRmT1_T2_T3_mT4_P12ihipStream_tbEUlT_E1_NS1_11comp_targetILNS1_3genE5ELNS1_11target_archE942ELNS1_3gpuE9ELNS1_3repE0EEENS1_30default_config_static_selectorELNS0_4arch9wavefront6targetE0EEEvSF_.num_named_barrier, 0
	.set _ZN7rocprim17ROCPRIM_400000_NS6detail17trampoline_kernelINS0_14default_configENS1_22reduce_config_selectorImEEZNS1_11reduce_implILb1ES3_PmS7_mN6thrust23THRUST_200600_302600_NS4plusImEEEE10hipError_tPvRmT1_T2_T3_mT4_P12ihipStream_tbEUlT_E1_NS1_11comp_targetILNS1_3genE5ELNS1_11target_archE942ELNS1_3gpuE9ELNS1_3repE0EEENS1_30default_config_static_selectorELNS0_4arch9wavefront6targetE0EEEvSF_.private_seg_size, 0
	.set _ZN7rocprim17ROCPRIM_400000_NS6detail17trampoline_kernelINS0_14default_configENS1_22reduce_config_selectorImEEZNS1_11reduce_implILb1ES3_PmS7_mN6thrust23THRUST_200600_302600_NS4plusImEEEE10hipError_tPvRmT1_T2_T3_mT4_P12ihipStream_tbEUlT_E1_NS1_11comp_targetILNS1_3genE5ELNS1_11target_archE942ELNS1_3gpuE9ELNS1_3repE0EEENS1_30default_config_static_selectorELNS0_4arch9wavefront6targetE0EEEvSF_.uses_vcc, 0
	.set _ZN7rocprim17ROCPRIM_400000_NS6detail17trampoline_kernelINS0_14default_configENS1_22reduce_config_selectorImEEZNS1_11reduce_implILb1ES3_PmS7_mN6thrust23THRUST_200600_302600_NS4plusImEEEE10hipError_tPvRmT1_T2_T3_mT4_P12ihipStream_tbEUlT_E1_NS1_11comp_targetILNS1_3genE5ELNS1_11target_archE942ELNS1_3gpuE9ELNS1_3repE0EEENS1_30default_config_static_selectorELNS0_4arch9wavefront6targetE0EEEvSF_.uses_flat_scratch, 0
	.set _ZN7rocprim17ROCPRIM_400000_NS6detail17trampoline_kernelINS0_14default_configENS1_22reduce_config_selectorImEEZNS1_11reduce_implILb1ES3_PmS7_mN6thrust23THRUST_200600_302600_NS4plusImEEEE10hipError_tPvRmT1_T2_T3_mT4_P12ihipStream_tbEUlT_E1_NS1_11comp_targetILNS1_3genE5ELNS1_11target_archE942ELNS1_3gpuE9ELNS1_3repE0EEENS1_30default_config_static_selectorELNS0_4arch9wavefront6targetE0EEEvSF_.has_dyn_sized_stack, 0
	.set _ZN7rocprim17ROCPRIM_400000_NS6detail17trampoline_kernelINS0_14default_configENS1_22reduce_config_selectorImEEZNS1_11reduce_implILb1ES3_PmS7_mN6thrust23THRUST_200600_302600_NS4plusImEEEE10hipError_tPvRmT1_T2_T3_mT4_P12ihipStream_tbEUlT_E1_NS1_11comp_targetILNS1_3genE5ELNS1_11target_archE942ELNS1_3gpuE9ELNS1_3repE0EEENS1_30default_config_static_selectorELNS0_4arch9wavefront6targetE0EEEvSF_.has_recursion, 0
	.set _ZN7rocprim17ROCPRIM_400000_NS6detail17trampoline_kernelINS0_14default_configENS1_22reduce_config_selectorImEEZNS1_11reduce_implILb1ES3_PmS7_mN6thrust23THRUST_200600_302600_NS4plusImEEEE10hipError_tPvRmT1_T2_T3_mT4_P12ihipStream_tbEUlT_E1_NS1_11comp_targetILNS1_3genE5ELNS1_11target_archE942ELNS1_3gpuE9ELNS1_3repE0EEENS1_30default_config_static_selectorELNS0_4arch9wavefront6targetE0EEEvSF_.has_indirect_call, 0
	.section	.AMDGPU.csdata,"",@progbits
; Kernel info:
; codeLenInByte = 0
; TotalNumSgprs: 0
; NumVgprs: 0
; ScratchSize: 0
; MemoryBound: 0
; FloatMode: 240
; IeeeMode: 1
; LDSByteSize: 0 bytes/workgroup (compile time only)
; SGPRBlocks: 0
; VGPRBlocks: 0
; NumSGPRsForWavesPerEU: 1
; NumVGPRsForWavesPerEU: 1
; Occupancy: 16
; WaveLimiterHint : 0
; COMPUTE_PGM_RSRC2:SCRATCH_EN: 0
; COMPUTE_PGM_RSRC2:USER_SGPR: 6
; COMPUTE_PGM_RSRC2:TRAP_HANDLER: 0
; COMPUTE_PGM_RSRC2:TGID_X_EN: 1
; COMPUTE_PGM_RSRC2:TGID_Y_EN: 0
; COMPUTE_PGM_RSRC2:TGID_Z_EN: 0
; COMPUTE_PGM_RSRC2:TIDIG_COMP_CNT: 0
	.section	.text._ZN7rocprim17ROCPRIM_400000_NS6detail17trampoline_kernelINS0_14default_configENS1_22reduce_config_selectorImEEZNS1_11reduce_implILb1ES3_PmS7_mN6thrust23THRUST_200600_302600_NS4plusImEEEE10hipError_tPvRmT1_T2_T3_mT4_P12ihipStream_tbEUlT_E1_NS1_11comp_targetILNS1_3genE4ELNS1_11target_archE910ELNS1_3gpuE8ELNS1_3repE0EEENS1_30default_config_static_selectorELNS0_4arch9wavefront6targetE0EEEvSF_,"axG",@progbits,_ZN7rocprim17ROCPRIM_400000_NS6detail17trampoline_kernelINS0_14default_configENS1_22reduce_config_selectorImEEZNS1_11reduce_implILb1ES3_PmS7_mN6thrust23THRUST_200600_302600_NS4plusImEEEE10hipError_tPvRmT1_T2_T3_mT4_P12ihipStream_tbEUlT_E1_NS1_11comp_targetILNS1_3genE4ELNS1_11target_archE910ELNS1_3gpuE8ELNS1_3repE0EEENS1_30default_config_static_selectorELNS0_4arch9wavefront6targetE0EEEvSF_,comdat
	.protected	_ZN7rocprim17ROCPRIM_400000_NS6detail17trampoline_kernelINS0_14default_configENS1_22reduce_config_selectorImEEZNS1_11reduce_implILb1ES3_PmS7_mN6thrust23THRUST_200600_302600_NS4plusImEEEE10hipError_tPvRmT1_T2_T3_mT4_P12ihipStream_tbEUlT_E1_NS1_11comp_targetILNS1_3genE4ELNS1_11target_archE910ELNS1_3gpuE8ELNS1_3repE0EEENS1_30default_config_static_selectorELNS0_4arch9wavefront6targetE0EEEvSF_ ; -- Begin function _ZN7rocprim17ROCPRIM_400000_NS6detail17trampoline_kernelINS0_14default_configENS1_22reduce_config_selectorImEEZNS1_11reduce_implILb1ES3_PmS7_mN6thrust23THRUST_200600_302600_NS4plusImEEEE10hipError_tPvRmT1_T2_T3_mT4_P12ihipStream_tbEUlT_E1_NS1_11comp_targetILNS1_3genE4ELNS1_11target_archE910ELNS1_3gpuE8ELNS1_3repE0EEENS1_30default_config_static_selectorELNS0_4arch9wavefront6targetE0EEEvSF_
	.globl	_ZN7rocprim17ROCPRIM_400000_NS6detail17trampoline_kernelINS0_14default_configENS1_22reduce_config_selectorImEEZNS1_11reduce_implILb1ES3_PmS7_mN6thrust23THRUST_200600_302600_NS4plusImEEEE10hipError_tPvRmT1_T2_T3_mT4_P12ihipStream_tbEUlT_E1_NS1_11comp_targetILNS1_3genE4ELNS1_11target_archE910ELNS1_3gpuE8ELNS1_3repE0EEENS1_30default_config_static_selectorELNS0_4arch9wavefront6targetE0EEEvSF_
	.p2align	8
	.type	_ZN7rocprim17ROCPRIM_400000_NS6detail17trampoline_kernelINS0_14default_configENS1_22reduce_config_selectorImEEZNS1_11reduce_implILb1ES3_PmS7_mN6thrust23THRUST_200600_302600_NS4plusImEEEE10hipError_tPvRmT1_T2_T3_mT4_P12ihipStream_tbEUlT_E1_NS1_11comp_targetILNS1_3genE4ELNS1_11target_archE910ELNS1_3gpuE8ELNS1_3repE0EEENS1_30default_config_static_selectorELNS0_4arch9wavefront6targetE0EEEvSF_,@function
_ZN7rocprim17ROCPRIM_400000_NS6detail17trampoline_kernelINS0_14default_configENS1_22reduce_config_selectorImEEZNS1_11reduce_implILb1ES3_PmS7_mN6thrust23THRUST_200600_302600_NS4plusImEEEE10hipError_tPvRmT1_T2_T3_mT4_P12ihipStream_tbEUlT_E1_NS1_11comp_targetILNS1_3genE4ELNS1_11target_archE910ELNS1_3gpuE8ELNS1_3repE0EEENS1_30default_config_static_selectorELNS0_4arch9wavefront6targetE0EEEvSF_: ; @_ZN7rocprim17ROCPRIM_400000_NS6detail17trampoline_kernelINS0_14default_configENS1_22reduce_config_selectorImEEZNS1_11reduce_implILb1ES3_PmS7_mN6thrust23THRUST_200600_302600_NS4plusImEEEE10hipError_tPvRmT1_T2_T3_mT4_P12ihipStream_tbEUlT_E1_NS1_11comp_targetILNS1_3genE4ELNS1_11target_archE910ELNS1_3gpuE8ELNS1_3repE0EEENS1_30default_config_static_selectorELNS0_4arch9wavefront6targetE0EEEvSF_
; %bb.0:
	.section	.rodata,"a",@progbits
	.p2align	6, 0x0
	.amdhsa_kernel _ZN7rocprim17ROCPRIM_400000_NS6detail17trampoline_kernelINS0_14default_configENS1_22reduce_config_selectorImEEZNS1_11reduce_implILb1ES3_PmS7_mN6thrust23THRUST_200600_302600_NS4plusImEEEE10hipError_tPvRmT1_T2_T3_mT4_P12ihipStream_tbEUlT_E1_NS1_11comp_targetILNS1_3genE4ELNS1_11target_archE910ELNS1_3gpuE8ELNS1_3repE0EEENS1_30default_config_static_selectorELNS0_4arch9wavefront6targetE0EEEvSF_
		.amdhsa_group_segment_fixed_size 0
		.amdhsa_private_segment_fixed_size 0
		.amdhsa_kernarg_size 48
		.amdhsa_user_sgpr_count 6
		.amdhsa_user_sgpr_private_segment_buffer 1
		.amdhsa_user_sgpr_dispatch_ptr 0
		.amdhsa_user_sgpr_queue_ptr 0
		.amdhsa_user_sgpr_kernarg_segment_ptr 1
		.amdhsa_user_sgpr_dispatch_id 0
		.amdhsa_user_sgpr_flat_scratch_init 0
		.amdhsa_user_sgpr_private_segment_size 0
		.amdhsa_wavefront_size32 1
		.amdhsa_uses_dynamic_stack 0
		.amdhsa_system_sgpr_private_segment_wavefront_offset 0
		.amdhsa_system_sgpr_workgroup_id_x 1
		.amdhsa_system_sgpr_workgroup_id_y 0
		.amdhsa_system_sgpr_workgroup_id_z 0
		.amdhsa_system_sgpr_workgroup_info 0
		.amdhsa_system_vgpr_workitem_id 0
		.amdhsa_next_free_vgpr 1
		.amdhsa_next_free_sgpr 1
		.amdhsa_reserve_vcc 0
		.amdhsa_reserve_flat_scratch 0
		.amdhsa_float_round_mode_32 0
		.amdhsa_float_round_mode_16_64 0
		.amdhsa_float_denorm_mode_32 3
		.amdhsa_float_denorm_mode_16_64 3
		.amdhsa_dx10_clamp 1
		.amdhsa_ieee_mode 1
		.amdhsa_fp16_overflow 0
		.amdhsa_workgroup_processor_mode 1
		.amdhsa_memory_ordered 1
		.amdhsa_forward_progress 1
		.amdhsa_shared_vgpr_count 0
		.amdhsa_exception_fp_ieee_invalid_op 0
		.amdhsa_exception_fp_denorm_src 0
		.amdhsa_exception_fp_ieee_div_zero 0
		.amdhsa_exception_fp_ieee_overflow 0
		.amdhsa_exception_fp_ieee_underflow 0
		.amdhsa_exception_fp_ieee_inexact 0
		.amdhsa_exception_int_div_zero 0
	.end_amdhsa_kernel
	.section	.text._ZN7rocprim17ROCPRIM_400000_NS6detail17trampoline_kernelINS0_14default_configENS1_22reduce_config_selectorImEEZNS1_11reduce_implILb1ES3_PmS7_mN6thrust23THRUST_200600_302600_NS4plusImEEEE10hipError_tPvRmT1_T2_T3_mT4_P12ihipStream_tbEUlT_E1_NS1_11comp_targetILNS1_3genE4ELNS1_11target_archE910ELNS1_3gpuE8ELNS1_3repE0EEENS1_30default_config_static_selectorELNS0_4arch9wavefront6targetE0EEEvSF_,"axG",@progbits,_ZN7rocprim17ROCPRIM_400000_NS6detail17trampoline_kernelINS0_14default_configENS1_22reduce_config_selectorImEEZNS1_11reduce_implILb1ES3_PmS7_mN6thrust23THRUST_200600_302600_NS4plusImEEEE10hipError_tPvRmT1_T2_T3_mT4_P12ihipStream_tbEUlT_E1_NS1_11comp_targetILNS1_3genE4ELNS1_11target_archE910ELNS1_3gpuE8ELNS1_3repE0EEENS1_30default_config_static_selectorELNS0_4arch9wavefront6targetE0EEEvSF_,comdat
.Lfunc_end31:
	.size	_ZN7rocprim17ROCPRIM_400000_NS6detail17trampoline_kernelINS0_14default_configENS1_22reduce_config_selectorImEEZNS1_11reduce_implILb1ES3_PmS7_mN6thrust23THRUST_200600_302600_NS4plusImEEEE10hipError_tPvRmT1_T2_T3_mT4_P12ihipStream_tbEUlT_E1_NS1_11comp_targetILNS1_3genE4ELNS1_11target_archE910ELNS1_3gpuE8ELNS1_3repE0EEENS1_30default_config_static_selectorELNS0_4arch9wavefront6targetE0EEEvSF_, .Lfunc_end31-_ZN7rocprim17ROCPRIM_400000_NS6detail17trampoline_kernelINS0_14default_configENS1_22reduce_config_selectorImEEZNS1_11reduce_implILb1ES3_PmS7_mN6thrust23THRUST_200600_302600_NS4plusImEEEE10hipError_tPvRmT1_T2_T3_mT4_P12ihipStream_tbEUlT_E1_NS1_11comp_targetILNS1_3genE4ELNS1_11target_archE910ELNS1_3gpuE8ELNS1_3repE0EEENS1_30default_config_static_selectorELNS0_4arch9wavefront6targetE0EEEvSF_
                                        ; -- End function
	.set _ZN7rocprim17ROCPRIM_400000_NS6detail17trampoline_kernelINS0_14default_configENS1_22reduce_config_selectorImEEZNS1_11reduce_implILb1ES3_PmS7_mN6thrust23THRUST_200600_302600_NS4plusImEEEE10hipError_tPvRmT1_T2_T3_mT4_P12ihipStream_tbEUlT_E1_NS1_11comp_targetILNS1_3genE4ELNS1_11target_archE910ELNS1_3gpuE8ELNS1_3repE0EEENS1_30default_config_static_selectorELNS0_4arch9wavefront6targetE0EEEvSF_.num_vgpr, 0
	.set _ZN7rocprim17ROCPRIM_400000_NS6detail17trampoline_kernelINS0_14default_configENS1_22reduce_config_selectorImEEZNS1_11reduce_implILb1ES3_PmS7_mN6thrust23THRUST_200600_302600_NS4plusImEEEE10hipError_tPvRmT1_T2_T3_mT4_P12ihipStream_tbEUlT_E1_NS1_11comp_targetILNS1_3genE4ELNS1_11target_archE910ELNS1_3gpuE8ELNS1_3repE0EEENS1_30default_config_static_selectorELNS0_4arch9wavefront6targetE0EEEvSF_.num_agpr, 0
	.set _ZN7rocprim17ROCPRIM_400000_NS6detail17trampoline_kernelINS0_14default_configENS1_22reduce_config_selectorImEEZNS1_11reduce_implILb1ES3_PmS7_mN6thrust23THRUST_200600_302600_NS4plusImEEEE10hipError_tPvRmT1_T2_T3_mT4_P12ihipStream_tbEUlT_E1_NS1_11comp_targetILNS1_3genE4ELNS1_11target_archE910ELNS1_3gpuE8ELNS1_3repE0EEENS1_30default_config_static_selectorELNS0_4arch9wavefront6targetE0EEEvSF_.numbered_sgpr, 0
	.set _ZN7rocprim17ROCPRIM_400000_NS6detail17trampoline_kernelINS0_14default_configENS1_22reduce_config_selectorImEEZNS1_11reduce_implILb1ES3_PmS7_mN6thrust23THRUST_200600_302600_NS4plusImEEEE10hipError_tPvRmT1_T2_T3_mT4_P12ihipStream_tbEUlT_E1_NS1_11comp_targetILNS1_3genE4ELNS1_11target_archE910ELNS1_3gpuE8ELNS1_3repE0EEENS1_30default_config_static_selectorELNS0_4arch9wavefront6targetE0EEEvSF_.num_named_barrier, 0
	.set _ZN7rocprim17ROCPRIM_400000_NS6detail17trampoline_kernelINS0_14default_configENS1_22reduce_config_selectorImEEZNS1_11reduce_implILb1ES3_PmS7_mN6thrust23THRUST_200600_302600_NS4plusImEEEE10hipError_tPvRmT1_T2_T3_mT4_P12ihipStream_tbEUlT_E1_NS1_11comp_targetILNS1_3genE4ELNS1_11target_archE910ELNS1_3gpuE8ELNS1_3repE0EEENS1_30default_config_static_selectorELNS0_4arch9wavefront6targetE0EEEvSF_.private_seg_size, 0
	.set _ZN7rocprim17ROCPRIM_400000_NS6detail17trampoline_kernelINS0_14default_configENS1_22reduce_config_selectorImEEZNS1_11reduce_implILb1ES3_PmS7_mN6thrust23THRUST_200600_302600_NS4plusImEEEE10hipError_tPvRmT1_T2_T3_mT4_P12ihipStream_tbEUlT_E1_NS1_11comp_targetILNS1_3genE4ELNS1_11target_archE910ELNS1_3gpuE8ELNS1_3repE0EEENS1_30default_config_static_selectorELNS0_4arch9wavefront6targetE0EEEvSF_.uses_vcc, 0
	.set _ZN7rocprim17ROCPRIM_400000_NS6detail17trampoline_kernelINS0_14default_configENS1_22reduce_config_selectorImEEZNS1_11reduce_implILb1ES3_PmS7_mN6thrust23THRUST_200600_302600_NS4plusImEEEE10hipError_tPvRmT1_T2_T3_mT4_P12ihipStream_tbEUlT_E1_NS1_11comp_targetILNS1_3genE4ELNS1_11target_archE910ELNS1_3gpuE8ELNS1_3repE0EEENS1_30default_config_static_selectorELNS0_4arch9wavefront6targetE0EEEvSF_.uses_flat_scratch, 0
	.set _ZN7rocprim17ROCPRIM_400000_NS6detail17trampoline_kernelINS0_14default_configENS1_22reduce_config_selectorImEEZNS1_11reduce_implILb1ES3_PmS7_mN6thrust23THRUST_200600_302600_NS4plusImEEEE10hipError_tPvRmT1_T2_T3_mT4_P12ihipStream_tbEUlT_E1_NS1_11comp_targetILNS1_3genE4ELNS1_11target_archE910ELNS1_3gpuE8ELNS1_3repE0EEENS1_30default_config_static_selectorELNS0_4arch9wavefront6targetE0EEEvSF_.has_dyn_sized_stack, 0
	.set _ZN7rocprim17ROCPRIM_400000_NS6detail17trampoline_kernelINS0_14default_configENS1_22reduce_config_selectorImEEZNS1_11reduce_implILb1ES3_PmS7_mN6thrust23THRUST_200600_302600_NS4plusImEEEE10hipError_tPvRmT1_T2_T3_mT4_P12ihipStream_tbEUlT_E1_NS1_11comp_targetILNS1_3genE4ELNS1_11target_archE910ELNS1_3gpuE8ELNS1_3repE0EEENS1_30default_config_static_selectorELNS0_4arch9wavefront6targetE0EEEvSF_.has_recursion, 0
	.set _ZN7rocprim17ROCPRIM_400000_NS6detail17trampoline_kernelINS0_14default_configENS1_22reduce_config_selectorImEEZNS1_11reduce_implILb1ES3_PmS7_mN6thrust23THRUST_200600_302600_NS4plusImEEEE10hipError_tPvRmT1_T2_T3_mT4_P12ihipStream_tbEUlT_E1_NS1_11comp_targetILNS1_3genE4ELNS1_11target_archE910ELNS1_3gpuE8ELNS1_3repE0EEENS1_30default_config_static_selectorELNS0_4arch9wavefront6targetE0EEEvSF_.has_indirect_call, 0
	.section	.AMDGPU.csdata,"",@progbits
; Kernel info:
; codeLenInByte = 0
; TotalNumSgprs: 0
; NumVgprs: 0
; ScratchSize: 0
; MemoryBound: 0
; FloatMode: 240
; IeeeMode: 1
; LDSByteSize: 0 bytes/workgroup (compile time only)
; SGPRBlocks: 0
; VGPRBlocks: 0
; NumSGPRsForWavesPerEU: 1
; NumVGPRsForWavesPerEU: 1
; Occupancy: 16
; WaveLimiterHint : 0
; COMPUTE_PGM_RSRC2:SCRATCH_EN: 0
; COMPUTE_PGM_RSRC2:USER_SGPR: 6
; COMPUTE_PGM_RSRC2:TRAP_HANDLER: 0
; COMPUTE_PGM_RSRC2:TGID_X_EN: 1
; COMPUTE_PGM_RSRC2:TGID_Y_EN: 0
; COMPUTE_PGM_RSRC2:TGID_Z_EN: 0
; COMPUTE_PGM_RSRC2:TIDIG_COMP_CNT: 0
	.section	.text._ZN7rocprim17ROCPRIM_400000_NS6detail17trampoline_kernelINS0_14default_configENS1_22reduce_config_selectorImEEZNS1_11reduce_implILb1ES3_PmS7_mN6thrust23THRUST_200600_302600_NS4plusImEEEE10hipError_tPvRmT1_T2_T3_mT4_P12ihipStream_tbEUlT_E1_NS1_11comp_targetILNS1_3genE3ELNS1_11target_archE908ELNS1_3gpuE7ELNS1_3repE0EEENS1_30default_config_static_selectorELNS0_4arch9wavefront6targetE0EEEvSF_,"axG",@progbits,_ZN7rocprim17ROCPRIM_400000_NS6detail17trampoline_kernelINS0_14default_configENS1_22reduce_config_selectorImEEZNS1_11reduce_implILb1ES3_PmS7_mN6thrust23THRUST_200600_302600_NS4plusImEEEE10hipError_tPvRmT1_T2_T3_mT4_P12ihipStream_tbEUlT_E1_NS1_11comp_targetILNS1_3genE3ELNS1_11target_archE908ELNS1_3gpuE7ELNS1_3repE0EEENS1_30default_config_static_selectorELNS0_4arch9wavefront6targetE0EEEvSF_,comdat
	.protected	_ZN7rocprim17ROCPRIM_400000_NS6detail17trampoline_kernelINS0_14default_configENS1_22reduce_config_selectorImEEZNS1_11reduce_implILb1ES3_PmS7_mN6thrust23THRUST_200600_302600_NS4plusImEEEE10hipError_tPvRmT1_T2_T3_mT4_P12ihipStream_tbEUlT_E1_NS1_11comp_targetILNS1_3genE3ELNS1_11target_archE908ELNS1_3gpuE7ELNS1_3repE0EEENS1_30default_config_static_selectorELNS0_4arch9wavefront6targetE0EEEvSF_ ; -- Begin function _ZN7rocprim17ROCPRIM_400000_NS6detail17trampoline_kernelINS0_14default_configENS1_22reduce_config_selectorImEEZNS1_11reduce_implILb1ES3_PmS7_mN6thrust23THRUST_200600_302600_NS4plusImEEEE10hipError_tPvRmT1_T2_T3_mT4_P12ihipStream_tbEUlT_E1_NS1_11comp_targetILNS1_3genE3ELNS1_11target_archE908ELNS1_3gpuE7ELNS1_3repE0EEENS1_30default_config_static_selectorELNS0_4arch9wavefront6targetE0EEEvSF_
	.globl	_ZN7rocprim17ROCPRIM_400000_NS6detail17trampoline_kernelINS0_14default_configENS1_22reduce_config_selectorImEEZNS1_11reduce_implILb1ES3_PmS7_mN6thrust23THRUST_200600_302600_NS4plusImEEEE10hipError_tPvRmT1_T2_T3_mT4_P12ihipStream_tbEUlT_E1_NS1_11comp_targetILNS1_3genE3ELNS1_11target_archE908ELNS1_3gpuE7ELNS1_3repE0EEENS1_30default_config_static_selectorELNS0_4arch9wavefront6targetE0EEEvSF_
	.p2align	8
	.type	_ZN7rocprim17ROCPRIM_400000_NS6detail17trampoline_kernelINS0_14default_configENS1_22reduce_config_selectorImEEZNS1_11reduce_implILb1ES3_PmS7_mN6thrust23THRUST_200600_302600_NS4plusImEEEE10hipError_tPvRmT1_T2_T3_mT4_P12ihipStream_tbEUlT_E1_NS1_11comp_targetILNS1_3genE3ELNS1_11target_archE908ELNS1_3gpuE7ELNS1_3repE0EEENS1_30default_config_static_selectorELNS0_4arch9wavefront6targetE0EEEvSF_,@function
_ZN7rocprim17ROCPRIM_400000_NS6detail17trampoline_kernelINS0_14default_configENS1_22reduce_config_selectorImEEZNS1_11reduce_implILb1ES3_PmS7_mN6thrust23THRUST_200600_302600_NS4plusImEEEE10hipError_tPvRmT1_T2_T3_mT4_P12ihipStream_tbEUlT_E1_NS1_11comp_targetILNS1_3genE3ELNS1_11target_archE908ELNS1_3gpuE7ELNS1_3repE0EEENS1_30default_config_static_selectorELNS0_4arch9wavefront6targetE0EEEvSF_: ; @_ZN7rocprim17ROCPRIM_400000_NS6detail17trampoline_kernelINS0_14default_configENS1_22reduce_config_selectorImEEZNS1_11reduce_implILb1ES3_PmS7_mN6thrust23THRUST_200600_302600_NS4plusImEEEE10hipError_tPvRmT1_T2_T3_mT4_P12ihipStream_tbEUlT_E1_NS1_11comp_targetILNS1_3genE3ELNS1_11target_archE908ELNS1_3gpuE7ELNS1_3repE0EEENS1_30default_config_static_selectorELNS0_4arch9wavefront6targetE0EEEvSF_
; %bb.0:
	.section	.rodata,"a",@progbits
	.p2align	6, 0x0
	.amdhsa_kernel _ZN7rocprim17ROCPRIM_400000_NS6detail17trampoline_kernelINS0_14default_configENS1_22reduce_config_selectorImEEZNS1_11reduce_implILb1ES3_PmS7_mN6thrust23THRUST_200600_302600_NS4plusImEEEE10hipError_tPvRmT1_T2_T3_mT4_P12ihipStream_tbEUlT_E1_NS1_11comp_targetILNS1_3genE3ELNS1_11target_archE908ELNS1_3gpuE7ELNS1_3repE0EEENS1_30default_config_static_selectorELNS0_4arch9wavefront6targetE0EEEvSF_
		.amdhsa_group_segment_fixed_size 0
		.amdhsa_private_segment_fixed_size 0
		.amdhsa_kernarg_size 48
		.amdhsa_user_sgpr_count 6
		.amdhsa_user_sgpr_private_segment_buffer 1
		.amdhsa_user_sgpr_dispatch_ptr 0
		.amdhsa_user_sgpr_queue_ptr 0
		.amdhsa_user_sgpr_kernarg_segment_ptr 1
		.amdhsa_user_sgpr_dispatch_id 0
		.amdhsa_user_sgpr_flat_scratch_init 0
		.amdhsa_user_sgpr_private_segment_size 0
		.amdhsa_wavefront_size32 1
		.amdhsa_uses_dynamic_stack 0
		.amdhsa_system_sgpr_private_segment_wavefront_offset 0
		.amdhsa_system_sgpr_workgroup_id_x 1
		.amdhsa_system_sgpr_workgroup_id_y 0
		.amdhsa_system_sgpr_workgroup_id_z 0
		.amdhsa_system_sgpr_workgroup_info 0
		.amdhsa_system_vgpr_workitem_id 0
		.amdhsa_next_free_vgpr 1
		.amdhsa_next_free_sgpr 1
		.amdhsa_reserve_vcc 0
		.amdhsa_reserve_flat_scratch 0
		.amdhsa_float_round_mode_32 0
		.amdhsa_float_round_mode_16_64 0
		.amdhsa_float_denorm_mode_32 3
		.amdhsa_float_denorm_mode_16_64 3
		.amdhsa_dx10_clamp 1
		.amdhsa_ieee_mode 1
		.amdhsa_fp16_overflow 0
		.amdhsa_workgroup_processor_mode 1
		.amdhsa_memory_ordered 1
		.amdhsa_forward_progress 1
		.amdhsa_shared_vgpr_count 0
		.amdhsa_exception_fp_ieee_invalid_op 0
		.amdhsa_exception_fp_denorm_src 0
		.amdhsa_exception_fp_ieee_div_zero 0
		.amdhsa_exception_fp_ieee_overflow 0
		.amdhsa_exception_fp_ieee_underflow 0
		.amdhsa_exception_fp_ieee_inexact 0
		.amdhsa_exception_int_div_zero 0
	.end_amdhsa_kernel
	.section	.text._ZN7rocprim17ROCPRIM_400000_NS6detail17trampoline_kernelINS0_14default_configENS1_22reduce_config_selectorImEEZNS1_11reduce_implILb1ES3_PmS7_mN6thrust23THRUST_200600_302600_NS4plusImEEEE10hipError_tPvRmT1_T2_T3_mT4_P12ihipStream_tbEUlT_E1_NS1_11comp_targetILNS1_3genE3ELNS1_11target_archE908ELNS1_3gpuE7ELNS1_3repE0EEENS1_30default_config_static_selectorELNS0_4arch9wavefront6targetE0EEEvSF_,"axG",@progbits,_ZN7rocprim17ROCPRIM_400000_NS6detail17trampoline_kernelINS0_14default_configENS1_22reduce_config_selectorImEEZNS1_11reduce_implILb1ES3_PmS7_mN6thrust23THRUST_200600_302600_NS4plusImEEEE10hipError_tPvRmT1_T2_T3_mT4_P12ihipStream_tbEUlT_E1_NS1_11comp_targetILNS1_3genE3ELNS1_11target_archE908ELNS1_3gpuE7ELNS1_3repE0EEENS1_30default_config_static_selectorELNS0_4arch9wavefront6targetE0EEEvSF_,comdat
.Lfunc_end32:
	.size	_ZN7rocprim17ROCPRIM_400000_NS6detail17trampoline_kernelINS0_14default_configENS1_22reduce_config_selectorImEEZNS1_11reduce_implILb1ES3_PmS7_mN6thrust23THRUST_200600_302600_NS4plusImEEEE10hipError_tPvRmT1_T2_T3_mT4_P12ihipStream_tbEUlT_E1_NS1_11comp_targetILNS1_3genE3ELNS1_11target_archE908ELNS1_3gpuE7ELNS1_3repE0EEENS1_30default_config_static_selectorELNS0_4arch9wavefront6targetE0EEEvSF_, .Lfunc_end32-_ZN7rocprim17ROCPRIM_400000_NS6detail17trampoline_kernelINS0_14default_configENS1_22reduce_config_selectorImEEZNS1_11reduce_implILb1ES3_PmS7_mN6thrust23THRUST_200600_302600_NS4plusImEEEE10hipError_tPvRmT1_T2_T3_mT4_P12ihipStream_tbEUlT_E1_NS1_11comp_targetILNS1_3genE3ELNS1_11target_archE908ELNS1_3gpuE7ELNS1_3repE0EEENS1_30default_config_static_selectorELNS0_4arch9wavefront6targetE0EEEvSF_
                                        ; -- End function
	.set _ZN7rocprim17ROCPRIM_400000_NS6detail17trampoline_kernelINS0_14default_configENS1_22reduce_config_selectorImEEZNS1_11reduce_implILb1ES3_PmS7_mN6thrust23THRUST_200600_302600_NS4plusImEEEE10hipError_tPvRmT1_T2_T3_mT4_P12ihipStream_tbEUlT_E1_NS1_11comp_targetILNS1_3genE3ELNS1_11target_archE908ELNS1_3gpuE7ELNS1_3repE0EEENS1_30default_config_static_selectorELNS0_4arch9wavefront6targetE0EEEvSF_.num_vgpr, 0
	.set _ZN7rocprim17ROCPRIM_400000_NS6detail17trampoline_kernelINS0_14default_configENS1_22reduce_config_selectorImEEZNS1_11reduce_implILb1ES3_PmS7_mN6thrust23THRUST_200600_302600_NS4plusImEEEE10hipError_tPvRmT1_T2_T3_mT4_P12ihipStream_tbEUlT_E1_NS1_11comp_targetILNS1_3genE3ELNS1_11target_archE908ELNS1_3gpuE7ELNS1_3repE0EEENS1_30default_config_static_selectorELNS0_4arch9wavefront6targetE0EEEvSF_.num_agpr, 0
	.set _ZN7rocprim17ROCPRIM_400000_NS6detail17trampoline_kernelINS0_14default_configENS1_22reduce_config_selectorImEEZNS1_11reduce_implILb1ES3_PmS7_mN6thrust23THRUST_200600_302600_NS4plusImEEEE10hipError_tPvRmT1_T2_T3_mT4_P12ihipStream_tbEUlT_E1_NS1_11comp_targetILNS1_3genE3ELNS1_11target_archE908ELNS1_3gpuE7ELNS1_3repE0EEENS1_30default_config_static_selectorELNS0_4arch9wavefront6targetE0EEEvSF_.numbered_sgpr, 0
	.set _ZN7rocprim17ROCPRIM_400000_NS6detail17trampoline_kernelINS0_14default_configENS1_22reduce_config_selectorImEEZNS1_11reduce_implILb1ES3_PmS7_mN6thrust23THRUST_200600_302600_NS4plusImEEEE10hipError_tPvRmT1_T2_T3_mT4_P12ihipStream_tbEUlT_E1_NS1_11comp_targetILNS1_3genE3ELNS1_11target_archE908ELNS1_3gpuE7ELNS1_3repE0EEENS1_30default_config_static_selectorELNS0_4arch9wavefront6targetE0EEEvSF_.num_named_barrier, 0
	.set _ZN7rocprim17ROCPRIM_400000_NS6detail17trampoline_kernelINS0_14default_configENS1_22reduce_config_selectorImEEZNS1_11reduce_implILb1ES3_PmS7_mN6thrust23THRUST_200600_302600_NS4plusImEEEE10hipError_tPvRmT1_T2_T3_mT4_P12ihipStream_tbEUlT_E1_NS1_11comp_targetILNS1_3genE3ELNS1_11target_archE908ELNS1_3gpuE7ELNS1_3repE0EEENS1_30default_config_static_selectorELNS0_4arch9wavefront6targetE0EEEvSF_.private_seg_size, 0
	.set _ZN7rocprim17ROCPRIM_400000_NS6detail17trampoline_kernelINS0_14default_configENS1_22reduce_config_selectorImEEZNS1_11reduce_implILb1ES3_PmS7_mN6thrust23THRUST_200600_302600_NS4plusImEEEE10hipError_tPvRmT1_T2_T3_mT4_P12ihipStream_tbEUlT_E1_NS1_11comp_targetILNS1_3genE3ELNS1_11target_archE908ELNS1_3gpuE7ELNS1_3repE0EEENS1_30default_config_static_selectorELNS0_4arch9wavefront6targetE0EEEvSF_.uses_vcc, 0
	.set _ZN7rocprim17ROCPRIM_400000_NS6detail17trampoline_kernelINS0_14default_configENS1_22reduce_config_selectorImEEZNS1_11reduce_implILb1ES3_PmS7_mN6thrust23THRUST_200600_302600_NS4plusImEEEE10hipError_tPvRmT1_T2_T3_mT4_P12ihipStream_tbEUlT_E1_NS1_11comp_targetILNS1_3genE3ELNS1_11target_archE908ELNS1_3gpuE7ELNS1_3repE0EEENS1_30default_config_static_selectorELNS0_4arch9wavefront6targetE0EEEvSF_.uses_flat_scratch, 0
	.set _ZN7rocprim17ROCPRIM_400000_NS6detail17trampoline_kernelINS0_14default_configENS1_22reduce_config_selectorImEEZNS1_11reduce_implILb1ES3_PmS7_mN6thrust23THRUST_200600_302600_NS4plusImEEEE10hipError_tPvRmT1_T2_T3_mT4_P12ihipStream_tbEUlT_E1_NS1_11comp_targetILNS1_3genE3ELNS1_11target_archE908ELNS1_3gpuE7ELNS1_3repE0EEENS1_30default_config_static_selectorELNS0_4arch9wavefront6targetE0EEEvSF_.has_dyn_sized_stack, 0
	.set _ZN7rocprim17ROCPRIM_400000_NS6detail17trampoline_kernelINS0_14default_configENS1_22reduce_config_selectorImEEZNS1_11reduce_implILb1ES3_PmS7_mN6thrust23THRUST_200600_302600_NS4plusImEEEE10hipError_tPvRmT1_T2_T3_mT4_P12ihipStream_tbEUlT_E1_NS1_11comp_targetILNS1_3genE3ELNS1_11target_archE908ELNS1_3gpuE7ELNS1_3repE0EEENS1_30default_config_static_selectorELNS0_4arch9wavefront6targetE0EEEvSF_.has_recursion, 0
	.set _ZN7rocprim17ROCPRIM_400000_NS6detail17trampoline_kernelINS0_14default_configENS1_22reduce_config_selectorImEEZNS1_11reduce_implILb1ES3_PmS7_mN6thrust23THRUST_200600_302600_NS4plusImEEEE10hipError_tPvRmT1_T2_T3_mT4_P12ihipStream_tbEUlT_E1_NS1_11comp_targetILNS1_3genE3ELNS1_11target_archE908ELNS1_3gpuE7ELNS1_3repE0EEENS1_30default_config_static_selectorELNS0_4arch9wavefront6targetE0EEEvSF_.has_indirect_call, 0
	.section	.AMDGPU.csdata,"",@progbits
; Kernel info:
; codeLenInByte = 0
; TotalNumSgprs: 0
; NumVgprs: 0
; ScratchSize: 0
; MemoryBound: 0
; FloatMode: 240
; IeeeMode: 1
; LDSByteSize: 0 bytes/workgroup (compile time only)
; SGPRBlocks: 0
; VGPRBlocks: 0
; NumSGPRsForWavesPerEU: 1
; NumVGPRsForWavesPerEU: 1
; Occupancy: 16
; WaveLimiterHint : 0
; COMPUTE_PGM_RSRC2:SCRATCH_EN: 0
; COMPUTE_PGM_RSRC2:USER_SGPR: 6
; COMPUTE_PGM_RSRC2:TRAP_HANDLER: 0
; COMPUTE_PGM_RSRC2:TGID_X_EN: 1
; COMPUTE_PGM_RSRC2:TGID_Y_EN: 0
; COMPUTE_PGM_RSRC2:TGID_Z_EN: 0
; COMPUTE_PGM_RSRC2:TIDIG_COMP_CNT: 0
	.section	.text._ZN7rocprim17ROCPRIM_400000_NS6detail17trampoline_kernelINS0_14default_configENS1_22reduce_config_selectorImEEZNS1_11reduce_implILb1ES3_PmS7_mN6thrust23THRUST_200600_302600_NS4plusImEEEE10hipError_tPvRmT1_T2_T3_mT4_P12ihipStream_tbEUlT_E1_NS1_11comp_targetILNS1_3genE2ELNS1_11target_archE906ELNS1_3gpuE6ELNS1_3repE0EEENS1_30default_config_static_selectorELNS0_4arch9wavefront6targetE0EEEvSF_,"axG",@progbits,_ZN7rocprim17ROCPRIM_400000_NS6detail17trampoline_kernelINS0_14default_configENS1_22reduce_config_selectorImEEZNS1_11reduce_implILb1ES3_PmS7_mN6thrust23THRUST_200600_302600_NS4plusImEEEE10hipError_tPvRmT1_T2_T3_mT4_P12ihipStream_tbEUlT_E1_NS1_11comp_targetILNS1_3genE2ELNS1_11target_archE906ELNS1_3gpuE6ELNS1_3repE0EEENS1_30default_config_static_selectorELNS0_4arch9wavefront6targetE0EEEvSF_,comdat
	.protected	_ZN7rocprim17ROCPRIM_400000_NS6detail17trampoline_kernelINS0_14default_configENS1_22reduce_config_selectorImEEZNS1_11reduce_implILb1ES3_PmS7_mN6thrust23THRUST_200600_302600_NS4plusImEEEE10hipError_tPvRmT1_T2_T3_mT4_P12ihipStream_tbEUlT_E1_NS1_11comp_targetILNS1_3genE2ELNS1_11target_archE906ELNS1_3gpuE6ELNS1_3repE0EEENS1_30default_config_static_selectorELNS0_4arch9wavefront6targetE0EEEvSF_ ; -- Begin function _ZN7rocprim17ROCPRIM_400000_NS6detail17trampoline_kernelINS0_14default_configENS1_22reduce_config_selectorImEEZNS1_11reduce_implILb1ES3_PmS7_mN6thrust23THRUST_200600_302600_NS4plusImEEEE10hipError_tPvRmT1_T2_T3_mT4_P12ihipStream_tbEUlT_E1_NS1_11comp_targetILNS1_3genE2ELNS1_11target_archE906ELNS1_3gpuE6ELNS1_3repE0EEENS1_30default_config_static_selectorELNS0_4arch9wavefront6targetE0EEEvSF_
	.globl	_ZN7rocprim17ROCPRIM_400000_NS6detail17trampoline_kernelINS0_14default_configENS1_22reduce_config_selectorImEEZNS1_11reduce_implILb1ES3_PmS7_mN6thrust23THRUST_200600_302600_NS4plusImEEEE10hipError_tPvRmT1_T2_T3_mT4_P12ihipStream_tbEUlT_E1_NS1_11comp_targetILNS1_3genE2ELNS1_11target_archE906ELNS1_3gpuE6ELNS1_3repE0EEENS1_30default_config_static_selectorELNS0_4arch9wavefront6targetE0EEEvSF_
	.p2align	8
	.type	_ZN7rocprim17ROCPRIM_400000_NS6detail17trampoline_kernelINS0_14default_configENS1_22reduce_config_selectorImEEZNS1_11reduce_implILb1ES3_PmS7_mN6thrust23THRUST_200600_302600_NS4plusImEEEE10hipError_tPvRmT1_T2_T3_mT4_P12ihipStream_tbEUlT_E1_NS1_11comp_targetILNS1_3genE2ELNS1_11target_archE906ELNS1_3gpuE6ELNS1_3repE0EEENS1_30default_config_static_selectorELNS0_4arch9wavefront6targetE0EEEvSF_,@function
_ZN7rocprim17ROCPRIM_400000_NS6detail17trampoline_kernelINS0_14default_configENS1_22reduce_config_selectorImEEZNS1_11reduce_implILb1ES3_PmS7_mN6thrust23THRUST_200600_302600_NS4plusImEEEE10hipError_tPvRmT1_T2_T3_mT4_P12ihipStream_tbEUlT_E1_NS1_11comp_targetILNS1_3genE2ELNS1_11target_archE906ELNS1_3gpuE6ELNS1_3repE0EEENS1_30default_config_static_selectorELNS0_4arch9wavefront6targetE0EEEvSF_: ; @_ZN7rocprim17ROCPRIM_400000_NS6detail17trampoline_kernelINS0_14default_configENS1_22reduce_config_selectorImEEZNS1_11reduce_implILb1ES3_PmS7_mN6thrust23THRUST_200600_302600_NS4plusImEEEE10hipError_tPvRmT1_T2_T3_mT4_P12ihipStream_tbEUlT_E1_NS1_11comp_targetILNS1_3genE2ELNS1_11target_archE906ELNS1_3gpuE6ELNS1_3repE0EEENS1_30default_config_static_selectorELNS0_4arch9wavefront6targetE0EEEvSF_
; %bb.0:
	.section	.rodata,"a",@progbits
	.p2align	6, 0x0
	.amdhsa_kernel _ZN7rocprim17ROCPRIM_400000_NS6detail17trampoline_kernelINS0_14default_configENS1_22reduce_config_selectorImEEZNS1_11reduce_implILb1ES3_PmS7_mN6thrust23THRUST_200600_302600_NS4plusImEEEE10hipError_tPvRmT1_T2_T3_mT4_P12ihipStream_tbEUlT_E1_NS1_11comp_targetILNS1_3genE2ELNS1_11target_archE906ELNS1_3gpuE6ELNS1_3repE0EEENS1_30default_config_static_selectorELNS0_4arch9wavefront6targetE0EEEvSF_
		.amdhsa_group_segment_fixed_size 0
		.amdhsa_private_segment_fixed_size 0
		.amdhsa_kernarg_size 48
		.amdhsa_user_sgpr_count 6
		.amdhsa_user_sgpr_private_segment_buffer 1
		.amdhsa_user_sgpr_dispatch_ptr 0
		.amdhsa_user_sgpr_queue_ptr 0
		.amdhsa_user_sgpr_kernarg_segment_ptr 1
		.amdhsa_user_sgpr_dispatch_id 0
		.amdhsa_user_sgpr_flat_scratch_init 0
		.amdhsa_user_sgpr_private_segment_size 0
		.amdhsa_wavefront_size32 1
		.amdhsa_uses_dynamic_stack 0
		.amdhsa_system_sgpr_private_segment_wavefront_offset 0
		.amdhsa_system_sgpr_workgroup_id_x 1
		.amdhsa_system_sgpr_workgroup_id_y 0
		.amdhsa_system_sgpr_workgroup_id_z 0
		.amdhsa_system_sgpr_workgroup_info 0
		.amdhsa_system_vgpr_workitem_id 0
		.amdhsa_next_free_vgpr 1
		.amdhsa_next_free_sgpr 1
		.amdhsa_reserve_vcc 0
		.amdhsa_reserve_flat_scratch 0
		.amdhsa_float_round_mode_32 0
		.amdhsa_float_round_mode_16_64 0
		.amdhsa_float_denorm_mode_32 3
		.amdhsa_float_denorm_mode_16_64 3
		.amdhsa_dx10_clamp 1
		.amdhsa_ieee_mode 1
		.amdhsa_fp16_overflow 0
		.amdhsa_workgroup_processor_mode 1
		.amdhsa_memory_ordered 1
		.amdhsa_forward_progress 1
		.amdhsa_shared_vgpr_count 0
		.amdhsa_exception_fp_ieee_invalid_op 0
		.amdhsa_exception_fp_denorm_src 0
		.amdhsa_exception_fp_ieee_div_zero 0
		.amdhsa_exception_fp_ieee_overflow 0
		.amdhsa_exception_fp_ieee_underflow 0
		.amdhsa_exception_fp_ieee_inexact 0
		.amdhsa_exception_int_div_zero 0
	.end_amdhsa_kernel
	.section	.text._ZN7rocprim17ROCPRIM_400000_NS6detail17trampoline_kernelINS0_14default_configENS1_22reduce_config_selectorImEEZNS1_11reduce_implILb1ES3_PmS7_mN6thrust23THRUST_200600_302600_NS4plusImEEEE10hipError_tPvRmT1_T2_T3_mT4_P12ihipStream_tbEUlT_E1_NS1_11comp_targetILNS1_3genE2ELNS1_11target_archE906ELNS1_3gpuE6ELNS1_3repE0EEENS1_30default_config_static_selectorELNS0_4arch9wavefront6targetE0EEEvSF_,"axG",@progbits,_ZN7rocprim17ROCPRIM_400000_NS6detail17trampoline_kernelINS0_14default_configENS1_22reduce_config_selectorImEEZNS1_11reduce_implILb1ES3_PmS7_mN6thrust23THRUST_200600_302600_NS4plusImEEEE10hipError_tPvRmT1_T2_T3_mT4_P12ihipStream_tbEUlT_E1_NS1_11comp_targetILNS1_3genE2ELNS1_11target_archE906ELNS1_3gpuE6ELNS1_3repE0EEENS1_30default_config_static_selectorELNS0_4arch9wavefront6targetE0EEEvSF_,comdat
.Lfunc_end33:
	.size	_ZN7rocprim17ROCPRIM_400000_NS6detail17trampoline_kernelINS0_14default_configENS1_22reduce_config_selectorImEEZNS1_11reduce_implILb1ES3_PmS7_mN6thrust23THRUST_200600_302600_NS4plusImEEEE10hipError_tPvRmT1_T2_T3_mT4_P12ihipStream_tbEUlT_E1_NS1_11comp_targetILNS1_3genE2ELNS1_11target_archE906ELNS1_3gpuE6ELNS1_3repE0EEENS1_30default_config_static_selectorELNS0_4arch9wavefront6targetE0EEEvSF_, .Lfunc_end33-_ZN7rocprim17ROCPRIM_400000_NS6detail17trampoline_kernelINS0_14default_configENS1_22reduce_config_selectorImEEZNS1_11reduce_implILb1ES3_PmS7_mN6thrust23THRUST_200600_302600_NS4plusImEEEE10hipError_tPvRmT1_T2_T3_mT4_P12ihipStream_tbEUlT_E1_NS1_11comp_targetILNS1_3genE2ELNS1_11target_archE906ELNS1_3gpuE6ELNS1_3repE0EEENS1_30default_config_static_selectorELNS0_4arch9wavefront6targetE0EEEvSF_
                                        ; -- End function
	.set _ZN7rocprim17ROCPRIM_400000_NS6detail17trampoline_kernelINS0_14default_configENS1_22reduce_config_selectorImEEZNS1_11reduce_implILb1ES3_PmS7_mN6thrust23THRUST_200600_302600_NS4plusImEEEE10hipError_tPvRmT1_T2_T3_mT4_P12ihipStream_tbEUlT_E1_NS1_11comp_targetILNS1_3genE2ELNS1_11target_archE906ELNS1_3gpuE6ELNS1_3repE0EEENS1_30default_config_static_selectorELNS0_4arch9wavefront6targetE0EEEvSF_.num_vgpr, 0
	.set _ZN7rocprim17ROCPRIM_400000_NS6detail17trampoline_kernelINS0_14default_configENS1_22reduce_config_selectorImEEZNS1_11reduce_implILb1ES3_PmS7_mN6thrust23THRUST_200600_302600_NS4plusImEEEE10hipError_tPvRmT1_T2_T3_mT4_P12ihipStream_tbEUlT_E1_NS1_11comp_targetILNS1_3genE2ELNS1_11target_archE906ELNS1_3gpuE6ELNS1_3repE0EEENS1_30default_config_static_selectorELNS0_4arch9wavefront6targetE0EEEvSF_.num_agpr, 0
	.set _ZN7rocprim17ROCPRIM_400000_NS6detail17trampoline_kernelINS0_14default_configENS1_22reduce_config_selectorImEEZNS1_11reduce_implILb1ES3_PmS7_mN6thrust23THRUST_200600_302600_NS4plusImEEEE10hipError_tPvRmT1_T2_T3_mT4_P12ihipStream_tbEUlT_E1_NS1_11comp_targetILNS1_3genE2ELNS1_11target_archE906ELNS1_3gpuE6ELNS1_3repE0EEENS1_30default_config_static_selectorELNS0_4arch9wavefront6targetE0EEEvSF_.numbered_sgpr, 0
	.set _ZN7rocprim17ROCPRIM_400000_NS6detail17trampoline_kernelINS0_14default_configENS1_22reduce_config_selectorImEEZNS1_11reduce_implILb1ES3_PmS7_mN6thrust23THRUST_200600_302600_NS4plusImEEEE10hipError_tPvRmT1_T2_T3_mT4_P12ihipStream_tbEUlT_E1_NS1_11comp_targetILNS1_3genE2ELNS1_11target_archE906ELNS1_3gpuE6ELNS1_3repE0EEENS1_30default_config_static_selectorELNS0_4arch9wavefront6targetE0EEEvSF_.num_named_barrier, 0
	.set _ZN7rocprim17ROCPRIM_400000_NS6detail17trampoline_kernelINS0_14default_configENS1_22reduce_config_selectorImEEZNS1_11reduce_implILb1ES3_PmS7_mN6thrust23THRUST_200600_302600_NS4plusImEEEE10hipError_tPvRmT1_T2_T3_mT4_P12ihipStream_tbEUlT_E1_NS1_11comp_targetILNS1_3genE2ELNS1_11target_archE906ELNS1_3gpuE6ELNS1_3repE0EEENS1_30default_config_static_selectorELNS0_4arch9wavefront6targetE0EEEvSF_.private_seg_size, 0
	.set _ZN7rocprim17ROCPRIM_400000_NS6detail17trampoline_kernelINS0_14default_configENS1_22reduce_config_selectorImEEZNS1_11reduce_implILb1ES3_PmS7_mN6thrust23THRUST_200600_302600_NS4plusImEEEE10hipError_tPvRmT1_T2_T3_mT4_P12ihipStream_tbEUlT_E1_NS1_11comp_targetILNS1_3genE2ELNS1_11target_archE906ELNS1_3gpuE6ELNS1_3repE0EEENS1_30default_config_static_selectorELNS0_4arch9wavefront6targetE0EEEvSF_.uses_vcc, 0
	.set _ZN7rocprim17ROCPRIM_400000_NS6detail17trampoline_kernelINS0_14default_configENS1_22reduce_config_selectorImEEZNS1_11reduce_implILb1ES3_PmS7_mN6thrust23THRUST_200600_302600_NS4plusImEEEE10hipError_tPvRmT1_T2_T3_mT4_P12ihipStream_tbEUlT_E1_NS1_11comp_targetILNS1_3genE2ELNS1_11target_archE906ELNS1_3gpuE6ELNS1_3repE0EEENS1_30default_config_static_selectorELNS0_4arch9wavefront6targetE0EEEvSF_.uses_flat_scratch, 0
	.set _ZN7rocprim17ROCPRIM_400000_NS6detail17trampoline_kernelINS0_14default_configENS1_22reduce_config_selectorImEEZNS1_11reduce_implILb1ES3_PmS7_mN6thrust23THRUST_200600_302600_NS4plusImEEEE10hipError_tPvRmT1_T2_T3_mT4_P12ihipStream_tbEUlT_E1_NS1_11comp_targetILNS1_3genE2ELNS1_11target_archE906ELNS1_3gpuE6ELNS1_3repE0EEENS1_30default_config_static_selectorELNS0_4arch9wavefront6targetE0EEEvSF_.has_dyn_sized_stack, 0
	.set _ZN7rocprim17ROCPRIM_400000_NS6detail17trampoline_kernelINS0_14default_configENS1_22reduce_config_selectorImEEZNS1_11reduce_implILb1ES3_PmS7_mN6thrust23THRUST_200600_302600_NS4plusImEEEE10hipError_tPvRmT1_T2_T3_mT4_P12ihipStream_tbEUlT_E1_NS1_11comp_targetILNS1_3genE2ELNS1_11target_archE906ELNS1_3gpuE6ELNS1_3repE0EEENS1_30default_config_static_selectorELNS0_4arch9wavefront6targetE0EEEvSF_.has_recursion, 0
	.set _ZN7rocprim17ROCPRIM_400000_NS6detail17trampoline_kernelINS0_14default_configENS1_22reduce_config_selectorImEEZNS1_11reduce_implILb1ES3_PmS7_mN6thrust23THRUST_200600_302600_NS4plusImEEEE10hipError_tPvRmT1_T2_T3_mT4_P12ihipStream_tbEUlT_E1_NS1_11comp_targetILNS1_3genE2ELNS1_11target_archE906ELNS1_3gpuE6ELNS1_3repE0EEENS1_30default_config_static_selectorELNS0_4arch9wavefront6targetE0EEEvSF_.has_indirect_call, 0
	.section	.AMDGPU.csdata,"",@progbits
; Kernel info:
; codeLenInByte = 0
; TotalNumSgprs: 0
; NumVgprs: 0
; ScratchSize: 0
; MemoryBound: 0
; FloatMode: 240
; IeeeMode: 1
; LDSByteSize: 0 bytes/workgroup (compile time only)
; SGPRBlocks: 0
; VGPRBlocks: 0
; NumSGPRsForWavesPerEU: 1
; NumVGPRsForWavesPerEU: 1
; Occupancy: 16
; WaveLimiterHint : 0
; COMPUTE_PGM_RSRC2:SCRATCH_EN: 0
; COMPUTE_PGM_RSRC2:USER_SGPR: 6
; COMPUTE_PGM_RSRC2:TRAP_HANDLER: 0
; COMPUTE_PGM_RSRC2:TGID_X_EN: 1
; COMPUTE_PGM_RSRC2:TGID_Y_EN: 0
; COMPUTE_PGM_RSRC2:TGID_Z_EN: 0
; COMPUTE_PGM_RSRC2:TIDIG_COMP_CNT: 0
	.section	.text._ZN7rocprim17ROCPRIM_400000_NS6detail17trampoline_kernelINS0_14default_configENS1_22reduce_config_selectorImEEZNS1_11reduce_implILb1ES3_PmS7_mN6thrust23THRUST_200600_302600_NS4plusImEEEE10hipError_tPvRmT1_T2_T3_mT4_P12ihipStream_tbEUlT_E1_NS1_11comp_targetILNS1_3genE10ELNS1_11target_archE1201ELNS1_3gpuE5ELNS1_3repE0EEENS1_30default_config_static_selectorELNS0_4arch9wavefront6targetE0EEEvSF_,"axG",@progbits,_ZN7rocprim17ROCPRIM_400000_NS6detail17trampoline_kernelINS0_14default_configENS1_22reduce_config_selectorImEEZNS1_11reduce_implILb1ES3_PmS7_mN6thrust23THRUST_200600_302600_NS4plusImEEEE10hipError_tPvRmT1_T2_T3_mT4_P12ihipStream_tbEUlT_E1_NS1_11comp_targetILNS1_3genE10ELNS1_11target_archE1201ELNS1_3gpuE5ELNS1_3repE0EEENS1_30default_config_static_selectorELNS0_4arch9wavefront6targetE0EEEvSF_,comdat
	.protected	_ZN7rocprim17ROCPRIM_400000_NS6detail17trampoline_kernelINS0_14default_configENS1_22reduce_config_selectorImEEZNS1_11reduce_implILb1ES3_PmS7_mN6thrust23THRUST_200600_302600_NS4plusImEEEE10hipError_tPvRmT1_T2_T3_mT4_P12ihipStream_tbEUlT_E1_NS1_11comp_targetILNS1_3genE10ELNS1_11target_archE1201ELNS1_3gpuE5ELNS1_3repE0EEENS1_30default_config_static_selectorELNS0_4arch9wavefront6targetE0EEEvSF_ ; -- Begin function _ZN7rocprim17ROCPRIM_400000_NS6detail17trampoline_kernelINS0_14default_configENS1_22reduce_config_selectorImEEZNS1_11reduce_implILb1ES3_PmS7_mN6thrust23THRUST_200600_302600_NS4plusImEEEE10hipError_tPvRmT1_T2_T3_mT4_P12ihipStream_tbEUlT_E1_NS1_11comp_targetILNS1_3genE10ELNS1_11target_archE1201ELNS1_3gpuE5ELNS1_3repE0EEENS1_30default_config_static_selectorELNS0_4arch9wavefront6targetE0EEEvSF_
	.globl	_ZN7rocprim17ROCPRIM_400000_NS6detail17trampoline_kernelINS0_14default_configENS1_22reduce_config_selectorImEEZNS1_11reduce_implILb1ES3_PmS7_mN6thrust23THRUST_200600_302600_NS4plusImEEEE10hipError_tPvRmT1_T2_T3_mT4_P12ihipStream_tbEUlT_E1_NS1_11comp_targetILNS1_3genE10ELNS1_11target_archE1201ELNS1_3gpuE5ELNS1_3repE0EEENS1_30default_config_static_selectorELNS0_4arch9wavefront6targetE0EEEvSF_
	.p2align	8
	.type	_ZN7rocprim17ROCPRIM_400000_NS6detail17trampoline_kernelINS0_14default_configENS1_22reduce_config_selectorImEEZNS1_11reduce_implILb1ES3_PmS7_mN6thrust23THRUST_200600_302600_NS4plusImEEEE10hipError_tPvRmT1_T2_T3_mT4_P12ihipStream_tbEUlT_E1_NS1_11comp_targetILNS1_3genE10ELNS1_11target_archE1201ELNS1_3gpuE5ELNS1_3repE0EEENS1_30default_config_static_selectorELNS0_4arch9wavefront6targetE0EEEvSF_,@function
_ZN7rocprim17ROCPRIM_400000_NS6detail17trampoline_kernelINS0_14default_configENS1_22reduce_config_selectorImEEZNS1_11reduce_implILb1ES3_PmS7_mN6thrust23THRUST_200600_302600_NS4plusImEEEE10hipError_tPvRmT1_T2_T3_mT4_P12ihipStream_tbEUlT_E1_NS1_11comp_targetILNS1_3genE10ELNS1_11target_archE1201ELNS1_3gpuE5ELNS1_3repE0EEENS1_30default_config_static_selectorELNS0_4arch9wavefront6targetE0EEEvSF_: ; @_ZN7rocprim17ROCPRIM_400000_NS6detail17trampoline_kernelINS0_14default_configENS1_22reduce_config_selectorImEEZNS1_11reduce_implILb1ES3_PmS7_mN6thrust23THRUST_200600_302600_NS4plusImEEEE10hipError_tPvRmT1_T2_T3_mT4_P12ihipStream_tbEUlT_E1_NS1_11comp_targetILNS1_3genE10ELNS1_11target_archE1201ELNS1_3gpuE5ELNS1_3repE0EEENS1_30default_config_static_selectorELNS0_4arch9wavefront6targetE0EEEvSF_
; %bb.0:
	.section	.rodata,"a",@progbits
	.p2align	6, 0x0
	.amdhsa_kernel _ZN7rocprim17ROCPRIM_400000_NS6detail17trampoline_kernelINS0_14default_configENS1_22reduce_config_selectorImEEZNS1_11reduce_implILb1ES3_PmS7_mN6thrust23THRUST_200600_302600_NS4plusImEEEE10hipError_tPvRmT1_T2_T3_mT4_P12ihipStream_tbEUlT_E1_NS1_11comp_targetILNS1_3genE10ELNS1_11target_archE1201ELNS1_3gpuE5ELNS1_3repE0EEENS1_30default_config_static_selectorELNS0_4arch9wavefront6targetE0EEEvSF_
		.amdhsa_group_segment_fixed_size 0
		.amdhsa_private_segment_fixed_size 0
		.amdhsa_kernarg_size 48
		.amdhsa_user_sgpr_count 6
		.amdhsa_user_sgpr_private_segment_buffer 1
		.amdhsa_user_sgpr_dispatch_ptr 0
		.amdhsa_user_sgpr_queue_ptr 0
		.amdhsa_user_sgpr_kernarg_segment_ptr 1
		.amdhsa_user_sgpr_dispatch_id 0
		.amdhsa_user_sgpr_flat_scratch_init 0
		.amdhsa_user_sgpr_private_segment_size 0
		.amdhsa_wavefront_size32 1
		.amdhsa_uses_dynamic_stack 0
		.amdhsa_system_sgpr_private_segment_wavefront_offset 0
		.amdhsa_system_sgpr_workgroup_id_x 1
		.amdhsa_system_sgpr_workgroup_id_y 0
		.amdhsa_system_sgpr_workgroup_id_z 0
		.amdhsa_system_sgpr_workgroup_info 0
		.amdhsa_system_vgpr_workitem_id 0
		.amdhsa_next_free_vgpr 1
		.amdhsa_next_free_sgpr 1
		.amdhsa_reserve_vcc 0
		.amdhsa_reserve_flat_scratch 0
		.amdhsa_float_round_mode_32 0
		.amdhsa_float_round_mode_16_64 0
		.amdhsa_float_denorm_mode_32 3
		.amdhsa_float_denorm_mode_16_64 3
		.amdhsa_dx10_clamp 1
		.amdhsa_ieee_mode 1
		.amdhsa_fp16_overflow 0
		.amdhsa_workgroup_processor_mode 1
		.amdhsa_memory_ordered 1
		.amdhsa_forward_progress 1
		.amdhsa_shared_vgpr_count 0
		.amdhsa_exception_fp_ieee_invalid_op 0
		.amdhsa_exception_fp_denorm_src 0
		.amdhsa_exception_fp_ieee_div_zero 0
		.amdhsa_exception_fp_ieee_overflow 0
		.amdhsa_exception_fp_ieee_underflow 0
		.amdhsa_exception_fp_ieee_inexact 0
		.amdhsa_exception_int_div_zero 0
	.end_amdhsa_kernel
	.section	.text._ZN7rocprim17ROCPRIM_400000_NS6detail17trampoline_kernelINS0_14default_configENS1_22reduce_config_selectorImEEZNS1_11reduce_implILb1ES3_PmS7_mN6thrust23THRUST_200600_302600_NS4plusImEEEE10hipError_tPvRmT1_T2_T3_mT4_P12ihipStream_tbEUlT_E1_NS1_11comp_targetILNS1_3genE10ELNS1_11target_archE1201ELNS1_3gpuE5ELNS1_3repE0EEENS1_30default_config_static_selectorELNS0_4arch9wavefront6targetE0EEEvSF_,"axG",@progbits,_ZN7rocprim17ROCPRIM_400000_NS6detail17trampoline_kernelINS0_14default_configENS1_22reduce_config_selectorImEEZNS1_11reduce_implILb1ES3_PmS7_mN6thrust23THRUST_200600_302600_NS4plusImEEEE10hipError_tPvRmT1_T2_T3_mT4_P12ihipStream_tbEUlT_E1_NS1_11comp_targetILNS1_3genE10ELNS1_11target_archE1201ELNS1_3gpuE5ELNS1_3repE0EEENS1_30default_config_static_selectorELNS0_4arch9wavefront6targetE0EEEvSF_,comdat
.Lfunc_end34:
	.size	_ZN7rocprim17ROCPRIM_400000_NS6detail17trampoline_kernelINS0_14default_configENS1_22reduce_config_selectorImEEZNS1_11reduce_implILb1ES3_PmS7_mN6thrust23THRUST_200600_302600_NS4plusImEEEE10hipError_tPvRmT1_T2_T3_mT4_P12ihipStream_tbEUlT_E1_NS1_11comp_targetILNS1_3genE10ELNS1_11target_archE1201ELNS1_3gpuE5ELNS1_3repE0EEENS1_30default_config_static_selectorELNS0_4arch9wavefront6targetE0EEEvSF_, .Lfunc_end34-_ZN7rocprim17ROCPRIM_400000_NS6detail17trampoline_kernelINS0_14default_configENS1_22reduce_config_selectorImEEZNS1_11reduce_implILb1ES3_PmS7_mN6thrust23THRUST_200600_302600_NS4plusImEEEE10hipError_tPvRmT1_T2_T3_mT4_P12ihipStream_tbEUlT_E1_NS1_11comp_targetILNS1_3genE10ELNS1_11target_archE1201ELNS1_3gpuE5ELNS1_3repE0EEENS1_30default_config_static_selectorELNS0_4arch9wavefront6targetE0EEEvSF_
                                        ; -- End function
	.set _ZN7rocprim17ROCPRIM_400000_NS6detail17trampoline_kernelINS0_14default_configENS1_22reduce_config_selectorImEEZNS1_11reduce_implILb1ES3_PmS7_mN6thrust23THRUST_200600_302600_NS4plusImEEEE10hipError_tPvRmT1_T2_T3_mT4_P12ihipStream_tbEUlT_E1_NS1_11comp_targetILNS1_3genE10ELNS1_11target_archE1201ELNS1_3gpuE5ELNS1_3repE0EEENS1_30default_config_static_selectorELNS0_4arch9wavefront6targetE0EEEvSF_.num_vgpr, 0
	.set _ZN7rocprim17ROCPRIM_400000_NS6detail17trampoline_kernelINS0_14default_configENS1_22reduce_config_selectorImEEZNS1_11reduce_implILb1ES3_PmS7_mN6thrust23THRUST_200600_302600_NS4plusImEEEE10hipError_tPvRmT1_T2_T3_mT4_P12ihipStream_tbEUlT_E1_NS1_11comp_targetILNS1_3genE10ELNS1_11target_archE1201ELNS1_3gpuE5ELNS1_3repE0EEENS1_30default_config_static_selectorELNS0_4arch9wavefront6targetE0EEEvSF_.num_agpr, 0
	.set _ZN7rocprim17ROCPRIM_400000_NS6detail17trampoline_kernelINS0_14default_configENS1_22reduce_config_selectorImEEZNS1_11reduce_implILb1ES3_PmS7_mN6thrust23THRUST_200600_302600_NS4plusImEEEE10hipError_tPvRmT1_T2_T3_mT4_P12ihipStream_tbEUlT_E1_NS1_11comp_targetILNS1_3genE10ELNS1_11target_archE1201ELNS1_3gpuE5ELNS1_3repE0EEENS1_30default_config_static_selectorELNS0_4arch9wavefront6targetE0EEEvSF_.numbered_sgpr, 0
	.set _ZN7rocprim17ROCPRIM_400000_NS6detail17trampoline_kernelINS0_14default_configENS1_22reduce_config_selectorImEEZNS1_11reduce_implILb1ES3_PmS7_mN6thrust23THRUST_200600_302600_NS4plusImEEEE10hipError_tPvRmT1_T2_T3_mT4_P12ihipStream_tbEUlT_E1_NS1_11comp_targetILNS1_3genE10ELNS1_11target_archE1201ELNS1_3gpuE5ELNS1_3repE0EEENS1_30default_config_static_selectorELNS0_4arch9wavefront6targetE0EEEvSF_.num_named_barrier, 0
	.set _ZN7rocprim17ROCPRIM_400000_NS6detail17trampoline_kernelINS0_14default_configENS1_22reduce_config_selectorImEEZNS1_11reduce_implILb1ES3_PmS7_mN6thrust23THRUST_200600_302600_NS4plusImEEEE10hipError_tPvRmT1_T2_T3_mT4_P12ihipStream_tbEUlT_E1_NS1_11comp_targetILNS1_3genE10ELNS1_11target_archE1201ELNS1_3gpuE5ELNS1_3repE0EEENS1_30default_config_static_selectorELNS0_4arch9wavefront6targetE0EEEvSF_.private_seg_size, 0
	.set _ZN7rocprim17ROCPRIM_400000_NS6detail17trampoline_kernelINS0_14default_configENS1_22reduce_config_selectorImEEZNS1_11reduce_implILb1ES3_PmS7_mN6thrust23THRUST_200600_302600_NS4plusImEEEE10hipError_tPvRmT1_T2_T3_mT4_P12ihipStream_tbEUlT_E1_NS1_11comp_targetILNS1_3genE10ELNS1_11target_archE1201ELNS1_3gpuE5ELNS1_3repE0EEENS1_30default_config_static_selectorELNS0_4arch9wavefront6targetE0EEEvSF_.uses_vcc, 0
	.set _ZN7rocprim17ROCPRIM_400000_NS6detail17trampoline_kernelINS0_14default_configENS1_22reduce_config_selectorImEEZNS1_11reduce_implILb1ES3_PmS7_mN6thrust23THRUST_200600_302600_NS4plusImEEEE10hipError_tPvRmT1_T2_T3_mT4_P12ihipStream_tbEUlT_E1_NS1_11comp_targetILNS1_3genE10ELNS1_11target_archE1201ELNS1_3gpuE5ELNS1_3repE0EEENS1_30default_config_static_selectorELNS0_4arch9wavefront6targetE0EEEvSF_.uses_flat_scratch, 0
	.set _ZN7rocprim17ROCPRIM_400000_NS6detail17trampoline_kernelINS0_14default_configENS1_22reduce_config_selectorImEEZNS1_11reduce_implILb1ES3_PmS7_mN6thrust23THRUST_200600_302600_NS4plusImEEEE10hipError_tPvRmT1_T2_T3_mT4_P12ihipStream_tbEUlT_E1_NS1_11comp_targetILNS1_3genE10ELNS1_11target_archE1201ELNS1_3gpuE5ELNS1_3repE0EEENS1_30default_config_static_selectorELNS0_4arch9wavefront6targetE0EEEvSF_.has_dyn_sized_stack, 0
	.set _ZN7rocprim17ROCPRIM_400000_NS6detail17trampoline_kernelINS0_14default_configENS1_22reduce_config_selectorImEEZNS1_11reduce_implILb1ES3_PmS7_mN6thrust23THRUST_200600_302600_NS4plusImEEEE10hipError_tPvRmT1_T2_T3_mT4_P12ihipStream_tbEUlT_E1_NS1_11comp_targetILNS1_3genE10ELNS1_11target_archE1201ELNS1_3gpuE5ELNS1_3repE0EEENS1_30default_config_static_selectorELNS0_4arch9wavefront6targetE0EEEvSF_.has_recursion, 0
	.set _ZN7rocprim17ROCPRIM_400000_NS6detail17trampoline_kernelINS0_14default_configENS1_22reduce_config_selectorImEEZNS1_11reduce_implILb1ES3_PmS7_mN6thrust23THRUST_200600_302600_NS4plusImEEEE10hipError_tPvRmT1_T2_T3_mT4_P12ihipStream_tbEUlT_E1_NS1_11comp_targetILNS1_3genE10ELNS1_11target_archE1201ELNS1_3gpuE5ELNS1_3repE0EEENS1_30default_config_static_selectorELNS0_4arch9wavefront6targetE0EEEvSF_.has_indirect_call, 0
	.section	.AMDGPU.csdata,"",@progbits
; Kernel info:
; codeLenInByte = 0
; TotalNumSgprs: 0
; NumVgprs: 0
; ScratchSize: 0
; MemoryBound: 0
; FloatMode: 240
; IeeeMode: 1
; LDSByteSize: 0 bytes/workgroup (compile time only)
; SGPRBlocks: 0
; VGPRBlocks: 0
; NumSGPRsForWavesPerEU: 1
; NumVGPRsForWavesPerEU: 1
; Occupancy: 16
; WaveLimiterHint : 0
; COMPUTE_PGM_RSRC2:SCRATCH_EN: 0
; COMPUTE_PGM_RSRC2:USER_SGPR: 6
; COMPUTE_PGM_RSRC2:TRAP_HANDLER: 0
; COMPUTE_PGM_RSRC2:TGID_X_EN: 1
; COMPUTE_PGM_RSRC2:TGID_Y_EN: 0
; COMPUTE_PGM_RSRC2:TGID_Z_EN: 0
; COMPUTE_PGM_RSRC2:TIDIG_COMP_CNT: 0
	.section	.text._ZN7rocprim17ROCPRIM_400000_NS6detail17trampoline_kernelINS0_14default_configENS1_22reduce_config_selectorImEEZNS1_11reduce_implILb1ES3_PmS7_mN6thrust23THRUST_200600_302600_NS4plusImEEEE10hipError_tPvRmT1_T2_T3_mT4_P12ihipStream_tbEUlT_E1_NS1_11comp_targetILNS1_3genE10ELNS1_11target_archE1200ELNS1_3gpuE4ELNS1_3repE0EEENS1_30default_config_static_selectorELNS0_4arch9wavefront6targetE0EEEvSF_,"axG",@progbits,_ZN7rocprim17ROCPRIM_400000_NS6detail17trampoline_kernelINS0_14default_configENS1_22reduce_config_selectorImEEZNS1_11reduce_implILb1ES3_PmS7_mN6thrust23THRUST_200600_302600_NS4plusImEEEE10hipError_tPvRmT1_T2_T3_mT4_P12ihipStream_tbEUlT_E1_NS1_11comp_targetILNS1_3genE10ELNS1_11target_archE1200ELNS1_3gpuE4ELNS1_3repE0EEENS1_30default_config_static_selectorELNS0_4arch9wavefront6targetE0EEEvSF_,comdat
	.protected	_ZN7rocprim17ROCPRIM_400000_NS6detail17trampoline_kernelINS0_14default_configENS1_22reduce_config_selectorImEEZNS1_11reduce_implILb1ES3_PmS7_mN6thrust23THRUST_200600_302600_NS4plusImEEEE10hipError_tPvRmT1_T2_T3_mT4_P12ihipStream_tbEUlT_E1_NS1_11comp_targetILNS1_3genE10ELNS1_11target_archE1200ELNS1_3gpuE4ELNS1_3repE0EEENS1_30default_config_static_selectorELNS0_4arch9wavefront6targetE0EEEvSF_ ; -- Begin function _ZN7rocprim17ROCPRIM_400000_NS6detail17trampoline_kernelINS0_14default_configENS1_22reduce_config_selectorImEEZNS1_11reduce_implILb1ES3_PmS7_mN6thrust23THRUST_200600_302600_NS4plusImEEEE10hipError_tPvRmT1_T2_T3_mT4_P12ihipStream_tbEUlT_E1_NS1_11comp_targetILNS1_3genE10ELNS1_11target_archE1200ELNS1_3gpuE4ELNS1_3repE0EEENS1_30default_config_static_selectorELNS0_4arch9wavefront6targetE0EEEvSF_
	.globl	_ZN7rocprim17ROCPRIM_400000_NS6detail17trampoline_kernelINS0_14default_configENS1_22reduce_config_selectorImEEZNS1_11reduce_implILb1ES3_PmS7_mN6thrust23THRUST_200600_302600_NS4plusImEEEE10hipError_tPvRmT1_T2_T3_mT4_P12ihipStream_tbEUlT_E1_NS1_11comp_targetILNS1_3genE10ELNS1_11target_archE1200ELNS1_3gpuE4ELNS1_3repE0EEENS1_30default_config_static_selectorELNS0_4arch9wavefront6targetE0EEEvSF_
	.p2align	8
	.type	_ZN7rocprim17ROCPRIM_400000_NS6detail17trampoline_kernelINS0_14default_configENS1_22reduce_config_selectorImEEZNS1_11reduce_implILb1ES3_PmS7_mN6thrust23THRUST_200600_302600_NS4plusImEEEE10hipError_tPvRmT1_T2_T3_mT4_P12ihipStream_tbEUlT_E1_NS1_11comp_targetILNS1_3genE10ELNS1_11target_archE1200ELNS1_3gpuE4ELNS1_3repE0EEENS1_30default_config_static_selectorELNS0_4arch9wavefront6targetE0EEEvSF_,@function
_ZN7rocprim17ROCPRIM_400000_NS6detail17trampoline_kernelINS0_14default_configENS1_22reduce_config_selectorImEEZNS1_11reduce_implILb1ES3_PmS7_mN6thrust23THRUST_200600_302600_NS4plusImEEEE10hipError_tPvRmT1_T2_T3_mT4_P12ihipStream_tbEUlT_E1_NS1_11comp_targetILNS1_3genE10ELNS1_11target_archE1200ELNS1_3gpuE4ELNS1_3repE0EEENS1_30default_config_static_selectorELNS0_4arch9wavefront6targetE0EEEvSF_: ; @_ZN7rocprim17ROCPRIM_400000_NS6detail17trampoline_kernelINS0_14default_configENS1_22reduce_config_selectorImEEZNS1_11reduce_implILb1ES3_PmS7_mN6thrust23THRUST_200600_302600_NS4plusImEEEE10hipError_tPvRmT1_T2_T3_mT4_P12ihipStream_tbEUlT_E1_NS1_11comp_targetILNS1_3genE10ELNS1_11target_archE1200ELNS1_3gpuE4ELNS1_3repE0EEENS1_30default_config_static_selectorELNS0_4arch9wavefront6targetE0EEEvSF_
; %bb.0:
	.section	.rodata,"a",@progbits
	.p2align	6, 0x0
	.amdhsa_kernel _ZN7rocprim17ROCPRIM_400000_NS6detail17trampoline_kernelINS0_14default_configENS1_22reduce_config_selectorImEEZNS1_11reduce_implILb1ES3_PmS7_mN6thrust23THRUST_200600_302600_NS4plusImEEEE10hipError_tPvRmT1_T2_T3_mT4_P12ihipStream_tbEUlT_E1_NS1_11comp_targetILNS1_3genE10ELNS1_11target_archE1200ELNS1_3gpuE4ELNS1_3repE0EEENS1_30default_config_static_selectorELNS0_4arch9wavefront6targetE0EEEvSF_
		.amdhsa_group_segment_fixed_size 0
		.amdhsa_private_segment_fixed_size 0
		.amdhsa_kernarg_size 48
		.amdhsa_user_sgpr_count 6
		.amdhsa_user_sgpr_private_segment_buffer 1
		.amdhsa_user_sgpr_dispatch_ptr 0
		.amdhsa_user_sgpr_queue_ptr 0
		.amdhsa_user_sgpr_kernarg_segment_ptr 1
		.amdhsa_user_sgpr_dispatch_id 0
		.amdhsa_user_sgpr_flat_scratch_init 0
		.amdhsa_user_sgpr_private_segment_size 0
		.amdhsa_wavefront_size32 1
		.amdhsa_uses_dynamic_stack 0
		.amdhsa_system_sgpr_private_segment_wavefront_offset 0
		.amdhsa_system_sgpr_workgroup_id_x 1
		.amdhsa_system_sgpr_workgroup_id_y 0
		.amdhsa_system_sgpr_workgroup_id_z 0
		.amdhsa_system_sgpr_workgroup_info 0
		.amdhsa_system_vgpr_workitem_id 0
		.amdhsa_next_free_vgpr 1
		.amdhsa_next_free_sgpr 1
		.amdhsa_reserve_vcc 0
		.amdhsa_reserve_flat_scratch 0
		.amdhsa_float_round_mode_32 0
		.amdhsa_float_round_mode_16_64 0
		.amdhsa_float_denorm_mode_32 3
		.amdhsa_float_denorm_mode_16_64 3
		.amdhsa_dx10_clamp 1
		.amdhsa_ieee_mode 1
		.amdhsa_fp16_overflow 0
		.amdhsa_workgroup_processor_mode 1
		.amdhsa_memory_ordered 1
		.amdhsa_forward_progress 1
		.amdhsa_shared_vgpr_count 0
		.amdhsa_exception_fp_ieee_invalid_op 0
		.amdhsa_exception_fp_denorm_src 0
		.amdhsa_exception_fp_ieee_div_zero 0
		.amdhsa_exception_fp_ieee_overflow 0
		.amdhsa_exception_fp_ieee_underflow 0
		.amdhsa_exception_fp_ieee_inexact 0
		.amdhsa_exception_int_div_zero 0
	.end_amdhsa_kernel
	.section	.text._ZN7rocprim17ROCPRIM_400000_NS6detail17trampoline_kernelINS0_14default_configENS1_22reduce_config_selectorImEEZNS1_11reduce_implILb1ES3_PmS7_mN6thrust23THRUST_200600_302600_NS4plusImEEEE10hipError_tPvRmT1_T2_T3_mT4_P12ihipStream_tbEUlT_E1_NS1_11comp_targetILNS1_3genE10ELNS1_11target_archE1200ELNS1_3gpuE4ELNS1_3repE0EEENS1_30default_config_static_selectorELNS0_4arch9wavefront6targetE0EEEvSF_,"axG",@progbits,_ZN7rocprim17ROCPRIM_400000_NS6detail17trampoline_kernelINS0_14default_configENS1_22reduce_config_selectorImEEZNS1_11reduce_implILb1ES3_PmS7_mN6thrust23THRUST_200600_302600_NS4plusImEEEE10hipError_tPvRmT1_T2_T3_mT4_P12ihipStream_tbEUlT_E1_NS1_11comp_targetILNS1_3genE10ELNS1_11target_archE1200ELNS1_3gpuE4ELNS1_3repE0EEENS1_30default_config_static_selectorELNS0_4arch9wavefront6targetE0EEEvSF_,comdat
.Lfunc_end35:
	.size	_ZN7rocprim17ROCPRIM_400000_NS6detail17trampoline_kernelINS0_14default_configENS1_22reduce_config_selectorImEEZNS1_11reduce_implILb1ES3_PmS7_mN6thrust23THRUST_200600_302600_NS4plusImEEEE10hipError_tPvRmT1_T2_T3_mT4_P12ihipStream_tbEUlT_E1_NS1_11comp_targetILNS1_3genE10ELNS1_11target_archE1200ELNS1_3gpuE4ELNS1_3repE0EEENS1_30default_config_static_selectorELNS0_4arch9wavefront6targetE0EEEvSF_, .Lfunc_end35-_ZN7rocprim17ROCPRIM_400000_NS6detail17trampoline_kernelINS0_14default_configENS1_22reduce_config_selectorImEEZNS1_11reduce_implILb1ES3_PmS7_mN6thrust23THRUST_200600_302600_NS4plusImEEEE10hipError_tPvRmT1_T2_T3_mT4_P12ihipStream_tbEUlT_E1_NS1_11comp_targetILNS1_3genE10ELNS1_11target_archE1200ELNS1_3gpuE4ELNS1_3repE0EEENS1_30default_config_static_selectorELNS0_4arch9wavefront6targetE0EEEvSF_
                                        ; -- End function
	.set _ZN7rocprim17ROCPRIM_400000_NS6detail17trampoline_kernelINS0_14default_configENS1_22reduce_config_selectorImEEZNS1_11reduce_implILb1ES3_PmS7_mN6thrust23THRUST_200600_302600_NS4plusImEEEE10hipError_tPvRmT1_T2_T3_mT4_P12ihipStream_tbEUlT_E1_NS1_11comp_targetILNS1_3genE10ELNS1_11target_archE1200ELNS1_3gpuE4ELNS1_3repE0EEENS1_30default_config_static_selectorELNS0_4arch9wavefront6targetE0EEEvSF_.num_vgpr, 0
	.set _ZN7rocprim17ROCPRIM_400000_NS6detail17trampoline_kernelINS0_14default_configENS1_22reduce_config_selectorImEEZNS1_11reduce_implILb1ES3_PmS7_mN6thrust23THRUST_200600_302600_NS4plusImEEEE10hipError_tPvRmT1_T2_T3_mT4_P12ihipStream_tbEUlT_E1_NS1_11comp_targetILNS1_3genE10ELNS1_11target_archE1200ELNS1_3gpuE4ELNS1_3repE0EEENS1_30default_config_static_selectorELNS0_4arch9wavefront6targetE0EEEvSF_.num_agpr, 0
	.set _ZN7rocprim17ROCPRIM_400000_NS6detail17trampoline_kernelINS0_14default_configENS1_22reduce_config_selectorImEEZNS1_11reduce_implILb1ES3_PmS7_mN6thrust23THRUST_200600_302600_NS4plusImEEEE10hipError_tPvRmT1_T2_T3_mT4_P12ihipStream_tbEUlT_E1_NS1_11comp_targetILNS1_3genE10ELNS1_11target_archE1200ELNS1_3gpuE4ELNS1_3repE0EEENS1_30default_config_static_selectorELNS0_4arch9wavefront6targetE0EEEvSF_.numbered_sgpr, 0
	.set _ZN7rocprim17ROCPRIM_400000_NS6detail17trampoline_kernelINS0_14default_configENS1_22reduce_config_selectorImEEZNS1_11reduce_implILb1ES3_PmS7_mN6thrust23THRUST_200600_302600_NS4plusImEEEE10hipError_tPvRmT1_T2_T3_mT4_P12ihipStream_tbEUlT_E1_NS1_11comp_targetILNS1_3genE10ELNS1_11target_archE1200ELNS1_3gpuE4ELNS1_3repE0EEENS1_30default_config_static_selectorELNS0_4arch9wavefront6targetE0EEEvSF_.num_named_barrier, 0
	.set _ZN7rocprim17ROCPRIM_400000_NS6detail17trampoline_kernelINS0_14default_configENS1_22reduce_config_selectorImEEZNS1_11reduce_implILb1ES3_PmS7_mN6thrust23THRUST_200600_302600_NS4plusImEEEE10hipError_tPvRmT1_T2_T3_mT4_P12ihipStream_tbEUlT_E1_NS1_11comp_targetILNS1_3genE10ELNS1_11target_archE1200ELNS1_3gpuE4ELNS1_3repE0EEENS1_30default_config_static_selectorELNS0_4arch9wavefront6targetE0EEEvSF_.private_seg_size, 0
	.set _ZN7rocprim17ROCPRIM_400000_NS6detail17trampoline_kernelINS0_14default_configENS1_22reduce_config_selectorImEEZNS1_11reduce_implILb1ES3_PmS7_mN6thrust23THRUST_200600_302600_NS4plusImEEEE10hipError_tPvRmT1_T2_T3_mT4_P12ihipStream_tbEUlT_E1_NS1_11comp_targetILNS1_3genE10ELNS1_11target_archE1200ELNS1_3gpuE4ELNS1_3repE0EEENS1_30default_config_static_selectorELNS0_4arch9wavefront6targetE0EEEvSF_.uses_vcc, 0
	.set _ZN7rocprim17ROCPRIM_400000_NS6detail17trampoline_kernelINS0_14default_configENS1_22reduce_config_selectorImEEZNS1_11reduce_implILb1ES3_PmS7_mN6thrust23THRUST_200600_302600_NS4plusImEEEE10hipError_tPvRmT1_T2_T3_mT4_P12ihipStream_tbEUlT_E1_NS1_11comp_targetILNS1_3genE10ELNS1_11target_archE1200ELNS1_3gpuE4ELNS1_3repE0EEENS1_30default_config_static_selectorELNS0_4arch9wavefront6targetE0EEEvSF_.uses_flat_scratch, 0
	.set _ZN7rocprim17ROCPRIM_400000_NS6detail17trampoline_kernelINS0_14default_configENS1_22reduce_config_selectorImEEZNS1_11reduce_implILb1ES3_PmS7_mN6thrust23THRUST_200600_302600_NS4plusImEEEE10hipError_tPvRmT1_T2_T3_mT4_P12ihipStream_tbEUlT_E1_NS1_11comp_targetILNS1_3genE10ELNS1_11target_archE1200ELNS1_3gpuE4ELNS1_3repE0EEENS1_30default_config_static_selectorELNS0_4arch9wavefront6targetE0EEEvSF_.has_dyn_sized_stack, 0
	.set _ZN7rocprim17ROCPRIM_400000_NS6detail17trampoline_kernelINS0_14default_configENS1_22reduce_config_selectorImEEZNS1_11reduce_implILb1ES3_PmS7_mN6thrust23THRUST_200600_302600_NS4plusImEEEE10hipError_tPvRmT1_T2_T3_mT4_P12ihipStream_tbEUlT_E1_NS1_11comp_targetILNS1_3genE10ELNS1_11target_archE1200ELNS1_3gpuE4ELNS1_3repE0EEENS1_30default_config_static_selectorELNS0_4arch9wavefront6targetE0EEEvSF_.has_recursion, 0
	.set _ZN7rocprim17ROCPRIM_400000_NS6detail17trampoline_kernelINS0_14default_configENS1_22reduce_config_selectorImEEZNS1_11reduce_implILb1ES3_PmS7_mN6thrust23THRUST_200600_302600_NS4plusImEEEE10hipError_tPvRmT1_T2_T3_mT4_P12ihipStream_tbEUlT_E1_NS1_11comp_targetILNS1_3genE10ELNS1_11target_archE1200ELNS1_3gpuE4ELNS1_3repE0EEENS1_30default_config_static_selectorELNS0_4arch9wavefront6targetE0EEEvSF_.has_indirect_call, 0
	.section	.AMDGPU.csdata,"",@progbits
; Kernel info:
; codeLenInByte = 0
; TotalNumSgprs: 0
; NumVgprs: 0
; ScratchSize: 0
; MemoryBound: 0
; FloatMode: 240
; IeeeMode: 1
; LDSByteSize: 0 bytes/workgroup (compile time only)
; SGPRBlocks: 0
; VGPRBlocks: 0
; NumSGPRsForWavesPerEU: 1
; NumVGPRsForWavesPerEU: 1
; Occupancy: 16
; WaveLimiterHint : 0
; COMPUTE_PGM_RSRC2:SCRATCH_EN: 0
; COMPUTE_PGM_RSRC2:USER_SGPR: 6
; COMPUTE_PGM_RSRC2:TRAP_HANDLER: 0
; COMPUTE_PGM_RSRC2:TGID_X_EN: 1
; COMPUTE_PGM_RSRC2:TGID_Y_EN: 0
; COMPUTE_PGM_RSRC2:TGID_Z_EN: 0
; COMPUTE_PGM_RSRC2:TIDIG_COMP_CNT: 0
	.section	.text._ZN7rocprim17ROCPRIM_400000_NS6detail17trampoline_kernelINS0_14default_configENS1_22reduce_config_selectorImEEZNS1_11reduce_implILb1ES3_PmS7_mN6thrust23THRUST_200600_302600_NS4plusImEEEE10hipError_tPvRmT1_T2_T3_mT4_P12ihipStream_tbEUlT_E1_NS1_11comp_targetILNS1_3genE9ELNS1_11target_archE1100ELNS1_3gpuE3ELNS1_3repE0EEENS1_30default_config_static_selectorELNS0_4arch9wavefront6targetE0EEEvSF_,"axG",@progbits,_ZN7rocprim17ROCPRIM_400000_NS6detail17trampoline_kernelINS0_14default_configENS1_22reduce_config_selectorImEEZNS1_11reduce_implILb1ES3_PmS7_mN6thrust23THRUST_200600_302600_NS4plusImEEEE10hipError_tPvRmT1_T2_T3_mT4_P12ihipStream_tbEUlT_E1_NS1_11comp_targetILNS1_3genE9ELNS1_11target_archE1100ELNS1_3gpuE3ELNS1_3repE0EEENS1_30default_config_static_selectorELNS0_4arch9wavefront6targetE0EEEvSF_,comdat
	.protected	_ZN7rocprim17ROCPRIM_400000_NS6detail17trampoline_kernelINS0_14default_configENS1_22reduce_config_selectorImEEZNS1_11reduce_implILb1ES3_PmS7_mN6thrust23THRUST_200600_302600_NS4plusImEEEE10hipError_tPvRmT1_T2_T3_mT4_P12ihipStream_tbEUlT_E1_NS1_11comp_targetILNS1_3genE9ELNS1_11target_archE1100ELNS1_3gpuE3ELNS1_3repE0EEENS1_30default_config_static_selectorELNS0_4arch9wavefront6targetE0EEEvSF_ ; -- Begin function _ZN7rocprim17ROCPRIM_400000_NS6detail17trampoline_kernelINS0_14default_configENS1_22reduce_config_selectorImEEZNS1_11reduce_implILb1ES3_PmS7_mN6thrust23THRUST_200600_302600_NS4plusImEEEE10hipError_tPvRmT1_T2_T3_mT4_P12ihipStream_tbEUlT_E1_NS1_11comp_targetILNS1_3genE9ELNS1_11target_archE1100ELNS1_3gpuE3ELNS1_3repE0EEENS1_30default_config_static_selectorELNS0_4arch9wavefront6targetE0EEEvSF_
	.globl	_ZN7rocprim17ROCPRIM_400000_NS6detail17trampoline_kernelINS0_14default_configENS1_22reduce_config_selectorImEEZNS1_11reduce_implILb1ES3_PmS7_mN6thrust23THRUST_200600_302600_NS4plusImEEEE10hipError_tPvRmT1_T2_T3_mT4_P12ihipStream_tbEUlT_E1_NS1_11comp_targetILNS1_3genE9ELNS1_11target_archE1100ELNS1_3gpuE3ELNS1_3repE0EEENS1_30default_config_static_selectorELNS0_4arch9wavefront6targetE0EEEvSF_
	.p2align	8
	.type	_ZN7rocprim17ROCPRIM_400000_NS6detail17trampoline_kernelINS0_14default_configENS1_22reduce_config_selectorImEEZNS1_11reduce_implILb1ES3_PmS7_mN6thrust23THRUST_200600_302600_NS4plusImEEEE10hipError_tPvRmT1_T2_T3_mT4_P12ihipStream_tbEUlT_E1_NS1_11comp_targetILNS1_3genE9ELNS1_11target_archE1100ELNS1_3gpuE3ELNS1_3repE0EEENS1_30default_config_static_selectorELNS0_4arch9wavefront6targetE0EEEvSF_,@function
_ZN7rocprim17ROCPRIM_400000_NS6detail17trampoline_kernelINS0_14default_configENS1_22reduce_config_selectorImEEZNS1_11reduce_implILb1ES3_PmS7_mN6thrust23THRUST_200600_302600_NS4plusImEEEE10hipError_tPvRmT1_T2_T3_mT4_P12ihipStream_tbEUlT_E1_NS1_11comp_targetILNS1_3genE9ELNS1_11target_archE1100ELNS1_3gpuE3ELNS1_3repE0EEENS1_30default_config_static_selectorELNS0_4arch9wavefront6targetE0EEEvSF_: ; @_ZN7rocprim17ROCPRIM_400000_NS6detail17trampoline_kernelINS0_14default_configENS1_22reduce_config_selectorImEEZNS1_11reduce_implILb1ES3_PmS7_mN6thrust23THRUST_200600_302600_NS4plusImEEEE10hipError_tPvRmT1_T2_T3_mT4_P12ihipStream_tbEUlT_E1_NS1_11comp_targetILNS1_3genE9ELNS1_11target_archE1100ELNS1_3gpuE3ELNS1_3repE0EEENS1_30default_config_static_selectorELNS0_4arch9wavefront6targetE0EEEvSF_
; %bb.0:
	.section	.rodata,"a",@progbits
	.p2align	6, 0x0
	.amdhsa_kernel _ZN7rocprim17ROCPRIM_400000_NS6detail17trampoline_kernelINS0_14default_configENS1_22reduce_config_selectorImEEZNS1_11reduce_implILb1ES3_PmS7_mN6thrust23THRUST_200600_302600_NS4plusImEEEE10hipError_tPvRmT1_T2_T3_mT4_P12ihipStream_tbEUlT_E1_NS1_11comp_targetILNS1_3genE9ELNS1_11target_archE1100ELNS1_3gpuE3ELNS1_3repE0EEENS1_30default_config_static_selectorELNS0_4arch9wavefront6targetE0EEEvSF_
		.amdhsa_group_segment_fixed_size 0
		.amdhsa_private_segment_fixed_size 0
		.amdhsa_kernarg_size 48
		.amdhsa_user_sgpr_count 6
		.amdhsa_user_sgpr_private_segment_buffer 1
		.amdhsa_user_sgpr_dispatch_ptr 0
		.amdhsa_user_sgpr_queue_ptr 0
		.amdhsa_user_sgpr_kernarg_segment_ptr 1
		.amdhsa_user_sgpr_dispatch_id 0
		.amdhsa_user_sgpr_flat_scratch_init 0
		.amdhsa_user_sgpr_private_segment_size 0
		.amdhsa_wavefront_size32 1
		.amdhsa_uses_dynamic_stack 0
		.amdhsa_system_sgpr_private_segment_wavefront_offset 0
		.amdhsa_system_sgpr_workgroup_id_x 1
		.amdhsa_system_sgpr_workgroup_id_y 0
		.amdhsa_system_sgpr_workgroup_id_z 0
		.amdhsa_system_sgpr_workgroup_info 0
		.amdhsa_system_vgpr_workitem_id 0
		.amdhsa_next_free_vgpr 1
		.amdhsa_next_free_sgpr 1
		.amdhsa_reserve_vcc 0
		.amdhsa_reserve_flat_scratch 0
		.amdhsa_float_round_mode_32 0
		.amdhsa_float_round_mode_16_64 0
		.amdhsa_float_denorm_mode_32 3
		.amdhsa_float_denorm_mode_16_64 3
		.amdhsa_dx10_clamp 1
		.amdhsa_ieee_mode 1
		.amdhsa_fp16_overflow 0
		.amdhsa_workgroup_processor_mode 1
		.amdhsa_memory_ordered 1
		.amdhsa_forward_progress 1
		.amdhsa_shared_vgpr_count 0
		.amdhsa_exception_fp_ieee_invalid_op 0
		.amdhsa_exception_fp_denorm_src 0
		.amdhsa_exception_fp_ieee_div_zero 0
		.amdhsa_exception_fp_ieee_overflow 0
		.amdhsa_exception_fp_ieee_underflow 0
		.amdhsa_exception_fp_ieee_inexact 0
		.amdhsa_exception_int_div_zero 0
	.end_amdhsa_kernel
	.section	.text._ZN7rocprim17ROCPRIM_400000_NS6detail17trampoline_kernelINS0_14default_configENS1_22reduce_config_selectorImEEZNS1_11reduce_implILb1ES3_PmS7_mN6thrust23THRUST_200600_302600_NS4plusImEEEE10hipError_tPvRmT1_T2_T3_mT4_P12ihipStream_tbEUlT_E1_NS1_11comp_targetILNS1_3genE9ELNS1_11target_archE1100ELNS1_3gpuE3ELNS1_3repE0EEENS1_30default_config_static_selectorELNS0_4arch9wavefront6targetE0EEEvSF_,"axG",@progbits,_ZN7rocprim17ROCPRIM_400000_NS6detail17trampoline_kernelINS0_14default_configENS1_22reduce_config_selectorImEEZNS1_11reduce_implILb1ES3_PmS7_mN6thrust23THRUST_200600_302600_NS4plusImEEEE10hipError_tPvRmT1_T2_T3_mT4_P12ihipStream_tbEUlT_E1_NS1_11comp_targetILNS1_3genE9ELNS1_11target_archE1100ELNS1_3gpuE3ELNS1_3repE0EEENS1_30default_config_static_selectorELNS0_4arch9wavefront6targetE0EEEvSF_,comdat
.Lfunc_end36:
	.size	_ZN7rocprim17ROCPRIM_400000_NS6detail17trampoline_kernelINS0_14default_configENS1_22reduce_config_selectorImEEZNS1_11reduce_implILb1ES3_PmS7_mN6thrust23THRUST_200600_302600_NS4plusImEEEE10hipError_tPvRmT1_T2_T3_mT4_P12ihipStream_tbEUlT_E1_NS1_11comp_targetILNS1_3genE9ELNS1_11target_archE1100ELNS1_3gpuE3ELNS1_3repE0EEENS1_30default_config_static_selectorELNS0_4arch9wavefront6targetE0EEEvSF_, .Lfunc_end36-_ZN7rocprim17ROCPRIM_400000_NS6detail17trampoline_kernelINS0_14default_configENS1_22reduce_config_selectorImEEZNS1_11reduce_implILb1ES3_PmS7_mN6thrust23THRUST_200600_302600_NS4plusImEEEE10hipError_tPvRmT1_T2_T3_mT4_P12ihipStream_tbEUlT_E1_NS1_11comp_targetILNS1_3genE9ELNS1_11target_archE1100ELNS1_3gpuE3ELNS1_3repE0EEENS1_30default_config_static_selectorELNS0_4arch9wavefront6targetE0EEEvSF_
                                        ; -- End function
	.set _ZN7rocprim17ROCPRIM_400000_NS6detail17trampoline_kernelINS0_14default_configENS1_22reduce_config_selectorImEEZNS1_11reduce_implILb1ES3_PmS7_mN6thrust23THRUST_200600_302600_NS4plusImEEEE10hipError_tPvRmT1_T2_T3_mT4_P12ihipStream_tbEUlT_E1_NS1_11comp_targetILNS1_3genE9ELNS1_11target_archE1100ELNS1_3gpuE3ELNS1_3repE0EEENS1_30default_config_static_selectorELNS0_4arch9wavefront6targetE0EEEvSF_.num_vgpr, 0
	.set _ZN7rocprim17ROCPRIM_400000_NS6detail17trampoline_kernelINS0_14default_configENS1_22reduce_config_selectorImEEZNS1_11reduce_implILb1ES3_PmS7_mN6thrust23THRUST_200600_302600_NS4plusImEEEE10hipError_tPvRmT1_T2_T3_mT4_P12ihipStream_tbEUlT_E1_NS1_11comp_targetILNS1_3genE9ELNS1_11target_archE1100ELNS1_3gpuE3ELNS1_3repE0EEENS1_30default_config_static_selectorELNS0_4arch9wavefront6targetE0EEEvSF_.num_agpr, 0
	.set _ZN7rocprim17ROCPRIM_400000_NS6detail17trampoline_kernelINS0_14default_configENS1_22reduce_config_selectorImEEZNS1_11reduce_implILb1ES3_PmS7_mN6thrust23THRUST_200600_302600_NS4plusImEEEE10hipError_tPvRmT1_T2_T3_mT4_P12ihipStream_tbEUlT_E1_NS1_11comp_targetILNS1_3genE9ELNS1_11target_archE1100ELNS1_3gpuE3ELNS1_3repE0EEENS1_30default_config_static_selectorELNS0_4arch9wavefront6targetE0EEEvSF_.numbered_sgpr, 0
	.set _ZN7rocprim17ROCPRIM_400000_NS6detail17trampoline_kernelINS0_14default_configENS1_22reduce_config_selectorImEEZNS1_11reduce_implILb1ES3_PmS7_mN6thrust23THRUST_200600_302600_NS4plusImEEEE10hipError_tPvRmT1_T2_T3_mT4_P12ihipStream_tbEUlT_E1_NS1_11comp_targetILNS1_3genE9ELNS1_11target_archE1100ELNS1_3gpuE3ELNS1_3repE0EEENS1_30default_config_static_selectorELNS0_4arch9wavefront6targetE0EEEvSF_.num_named_barrier, 0
	.set _ZN7rocprim17ROCPRIM_400000_NS6detail17trampoline_kernelINS0_14default_configENS1_22reduce_config_selectorImEEZNS1_11reduce_implILb1ES3_PmS7_mN6thrust23THRUST_200600_302600_NS4plusImEEEE10hipError_tPvRmT1_T2_T3_mT4_P12ihipStream_tbEUlT_E1_NS1_11comp_targetILNS1_3genE9ELNS1_11target_archE1100ELNS1_3gpuE3ELNS1_3repE0EEENS1_30default_config_static_selectorELNS0_4arch9wavefront6targetE0EEEvSF_.private_seg_size, 0
	.set _ZN7rocprim17ROCPRIM_400000_NS6detail17trampoline_kernelINS0_14default_configENS1_22reduce_config_selectorImEEZNS1_11reduce_implILb1ES3_PmS7_mN6thrust23THRUST_200600_302600_NS4plusImEEEE10hipError_tPvRmT1_T2_T3_mT4_P12ihipStream_tbEUlT_E1_NS1_11comp_targetILNS1_3genE9ELNS1_11target_archE1100ELNS1_3gpuE3ELNS1_3repE0EEENS1_30default_config_static_selectorELNS0_4arch9wavefront6targetE0EEEvSF_.uses_vcc, 0
	.set _ZN7rocprim17ROCPRIM_400000_NS6detail17trampoline_kernelINS0_14default_configENS1_22reduce_config_selectorImEEZNS1_11reduce_implILb1ES3_PmS7_mN6thrust23THRUST_200600_302600_NS4plusImEEEE10hipError_tPvRmT1_T2_T3_mT4_P12ihipStream_tbEUlT_E1_NS1_11comp_targetILNS1_3genE9ELNS1_11target_archE1100ELNS1_3gpuE3ELNS1_3repE0EEENS1_30default_config_static_selectorELNS0_4arch9wavefront6targetE0EEEvSF_.uses_flat_scratch, 0
	.set _ZN7rocprim17ROCPRIM_400000_NS6detail17trampoline_kernelINS0_14default_configENS1_22reduce_config_selectorImEEZNS1_11reduce_implILb1ES3_PmS7_mN6thrust23THRUST_200600_302600_NS4plusImEEEE10hipError_tPvRmT1_T2_T3_mT4_P12ihipStream_tbEUlT_E1_NS1_11comp_targetILNS1_3genE9ELNS1_11target_archE1100ELNS1_3gpuE3ELNS1_3repE0EEENS1_30default_config_static_selectorELNS0_4arch9wavefront6targetE0EEEvSF_.has_dyn_sized_stack, 0
	.set _ZN7rocprim17ROCPRIM_400000_NS6detail17trampoline_kernelINS0_14default_configENS1_22reduce_config_selectorImEEZNS1_11reduce_implILb1ES3_PmS7_mN6thrust23THRUST_200600_302600_NS4plusImEEEE10hipError_tPvRmT1_T2_T3_mT4_P12ihipStream_tbEUlT_E1_NS1_11comp_targetILNS1_3genE9ELNS1_11target_archE1100ELNS1_3gpuE3ELNS1_3repE0EEENS1_30default_config_static_selectorELNS0_4arch9wavefront6targetE0EEEvSF_.has_recursion, 0
	.set _ZN7rocprim17ROCPRIM_400000_NS6detail17trampoline_kernelINS0_14default_configENS1_22reduce_config_selectorImEEZNS1_11reduce_implILb1ES3_PmS7_mN6thrust23THRUST_200600_302600_NS4plusImEEEE10hipError_tPvRmT1_T2_T3_mT4_P12ihipStream_tbEUlT_E1_NS1_11comp_targetILNS1_3genE9ELNS1_11target_archE1100ELNS1_3gpuE3ELNS1_3repE0EEENS1_30default_config_static_selectorELNS0_4arch9wavefront6targetE0EEEvSF_.has_indirect_call, 0
	.section	.AMDGPU.csdata,"",@progbits
; Kernel info:
; codeLenInByte = 0
; TotalNumSgprs: 0
; NumVgprs: 0
; ScratchSize: 0
; MemoryBound: 0
; FloatMode: 240
; IeeeMode: 1
; LDSByteSize: 0 bytes/workgroup (compile time only)
; SGPRBlocks: 0
; VGPRBlocks: 0
; NumSGPRsForWavesPerEU: 1
; NumVGPRsForWavesPerEU: 1
; Occupancy: 16
; WaveLimiterHint : 0
; COMPUTE_PGM_RSRC2:SCRATCH_EN: 0
; COMPUTE_PGM_RSRC2:USER_SGPR: 6
; COMPUTE_PGM_RSRC2:TRAP_HANDLER: 0
; COMPUTE_PGM_RSRC2:TGID_X_EN: 1
; COMPUTE_PGM_RSRC2:TGID_Y_EN: 0
; COMPUTE_PGM_RSRC2:TGID_Z_EN: 0
; COMPUTE_PGM_RSRC2:TIDIG_COMP_CNT: 0
	.section	.text._ZN7rocprim17ROCPRIM_400000_NS6detail17trampoline_kernelINS0_14default_configENS1_22reduce_config_selectorImEEZNS1_11reduce_implILb1ES3_PmS7_mN6thrust23THRUST_200600_302600_NS4plusImEEEE10hipError_tPvRmT1_T2_T3_mT4_P12ihipStream_tbEUlT_E1_NS1_11comp_targetILNS1_3genE8ELNS1_11target_archE1030ELNS1_3gpuE2ELNS1_3repE0EEENS1_30default_config_static_selectorELNS0_4arch9wavefront6targetE0EEEvSF_,"axG",@progbits,_ZN7rocprim17ROCPRIM_400000_NS6detail17trampoline_kernelINS0_14default_configENS1_22reduce_config_selectorImEEZNS1_11reduce_implILb1ES3_PmS7_mN6thrust23THRUST_200600_302600_NS4plusImEEEE10hipError_tPvRmT1_T2_T3_mT4_P12ihipStream_tbEUlT_E1_NS1_11comp_targetILNS1_3genE8ELNS1_11target_archE1030ELNS1_3gpuE2ELNS1_3repE0EEENS1_30default_config_static_selectorELNS0_4arch9wavefront6targetE0EEEvSF_,comdat
	.protected	_ZN7rocprim17ROCPRIM_400000_NS6detail17trampoline_kernelINS0_14default_configENS1_22reduce_config_selectorImEEZNS1_11reduce_implILb1ES3_PmS7_mN6thrust23THRUST_200600_302600_NS4plusImEEEE10hipError_tPvRmT1_T2_T3_mT4_P12ihipStream_tbEUlT_E1_NS1_11comp_targetILNS1_3genE8ELNS1_11target_archE1030ELNS1_3gpuE2ELNS1_3repE0EEENS1_30default_config_static_selectorELNS0_4arch9wavefront6targetE0EEEvSF_ ; -- Begin function _ZN7rocprim17ROCPRIM_400000_NS6detail17trampoline_kernelINS0_14default_configENS1_22reduce_config_selectorImEEZNS1_11reduce_implILb1ES3_PmS7_mN6thrust23THRUST_200600_302600_NS4plusImEEEE10hipError_tPvRmT1_T2_T3_mT4_P12ihipStream_tbEUlT_E1_NS1_11comp_targetILNS1_3genE8ELNS1_11target_archE1030ELNS1_3gpuE2ELNS1_3repE0EEENS1_30default_config_static_selectorELNS0_4arch9wavefront6targetE0EEEvSF_
	.globl	_ZN7rocprim17ROCPRIM_400000_NS6detail17trampoline_kernelINS0_14default_configENS1_22reduce_config_selectorImEEZNS1_11reduce_implILb1ES3_PmS7_mN6thrust23THRUST_200600_302600_NS4plusImEEEE10hipError_tPvRmT1_T2_T3_mT4_P12ihipStream_tbEUlT_E1_NS1_11comp_targetILNS1_3genE8ELNS1_11target_archE1030ELNS1_3gpuE2ELNS1_3repE0EEENS1_30default_config_static_selectorELNS0_4arch9wavefront6targetE0EEEvSF_
	.p2align	8
	.type	_ZN7rocprim17ROCPRIM_400000_NS6detail17trampoline_kernelINS0_14default_configENS1_22reduce_config_selectorImEEZNS1_11reduce_implILb1ES3_PmS7_mN6thrust23THRUST_200600_302600_NS4plusImEEEE10hipError_tPvRmT1_T2_T3_mT4_P12ihipStream_tbEUlT_E1_NS1_11comp_targetILNS1_3genE8ELNS1_11target_archE1030ELNS1_3gpuE2ELNS1_3repE0EEENS1_30default_config_static_selectorELNS0_4arch9wavefront6targetE0EEEvSF_,@function
_ZN7rocprim17ROCPRIM_400000_NS6detail17trampoline_kernelINS0_14default_configENS1_22reduce_config_selectorImEEZNS1_11reduce_implILb1ES3_PmS7_mN6thrust23THRUST_200600_302600_NS4plusImEEEE10hipError_tPvRmT1_T2_T3_mT4_P12ihipStream_tbEUlT_E1_NS1_11comp_targetILNS1_3genE8ELNS1_11target_archE1030ELNS1_3gpuE2ELNS1_3repE0EEENS1_30default_config_static_selectorELNS0_4arch9wavefront6targetE0EEEvSF_: ; @_ZN7rocprim17ROCPRIM_400000_NS6detail17trampoline_kernelINS0_14default_configENS1_22reduce_config_selectorImEEZNS1_11reduce_implILb1ES3_PmS7_mN6thrust23THRUST_200600_302600_NS4plusImEEEE10hipError_tPvRmT1_T2_T3_mT4_P12ihipStream_tbEUlT_E1_NS1_11comp_targetILNS1_3genE8ELNS1_11target_archE1030ELNS1_3gpuE2ELNS1_3repE0EEENS1_30default_config_static_selectorELNS0_4arch9wavefront6targetE0EEEvSF_
; %bb.0:
	s_clause 0x1
	s_load_dword s26, s[4:5], 0x4
	s_load_dwordx8 s[16:23], s[4:5], 0x8
	s_waitcnt lgkmcnt(0)
	s_cmp_lt_i32 s26, 4
	s_cbranch_scc1 .LBB37_10
; %bb.1:
	s_cmp_gt_i32 s26, 7
	s_cbranch_scc0 .LBB37_11
; %bb.2:
	s_cmp_gt_i32 s26, 15
	s_cbranch_scc0 .LBB37_12
; %bb.3:
	s_mov_b32 s27, 0
	s_cmp_eq_u32 s26, 16
	s_mov_b32 s0, 0
                                        ; implicit-def: $vgpr1_vgpr2
                                        ; implicit-def: $vgpr3_vgpr4
	s_cbranch_scc0 .LBB37_13
; %bb.4:
	s_mov_b32 s7, 0
	s_lshl_b32 s0, s6, 12
	s_mov_b32 s1, s7
	s_lshr_b64 s[4:5], s[18:19], 12
	s_lshl_b64 s[2:3], s[0:1], 3
	s_add_u32 s24, s16, s2
	s_addc_u32 s25, s17, s3
	s_cmp_lg_u64 s[4:5], s[6:7]
	s_cbranch_scc0 .LBB37_21
; %bb.5:
	v_lshlrev_b32_e32 v3, 3, v0
	v_add_co_u32 v31, s1, s24, v3
	v_add_co_ci_u32_e64 v32, null, s25, 0, s1
	s_mov_b32 s1, exec_lo
	v_add_co_u32 v1, vcc_lo, v31, 0x1000
	v_add_co_ci_u32_e64 v2, null, 0, v32, vcc_lo
	v_add_co_u32 v7, vcc_lo, v31, 0x2000
	s_clause 0x1
	global_load_dwordx2 v[3:4], v3, s[24:25]
	global_load_dwordx2 v[5:6], v[1:2], off offset:-2048
	v_add_co_ci_u32_e64 v8, null, 0, v32, vcc_lo
	s_clause 0x1
	global_load_dwordx2 v[1:2], v[1:2], off
	global_load_dwordx2 v[9:10], v[7:8], off offset:-2048
	v_add_co_u32 v11, vcc_lo, v31, 0x3000
	v_add_co_ci_u32_e64 v12, null, 0, v32, vcc_lo
	s_clause 0x1
	global_load_dwordx2 v[7:8], v[7:8], off
	global_load_dwordx2 v[13:14], v[11:12], off offset:-2048
	v_add_co_u32 v15, vcc_lo, v31, 0x4000
	;; [unrolled: 5-line block ×6, first 2 shown]
	v_add_co_ci_u32_e64 v32, null, 0, v32, vcc_lo
	s_clause 0x1
	global_load_dwordx2 v[27:28], v[27:28], off
	global_load_dwordx2 v[31:32], v[31:32], off
	s_waitcnt vmcnt(14)
	v_add_co_u32 v3, vcc_lo, v5, v3
	v_add_co_ci_u32_e64 v4, null, v6, v4, vcc_lo
	s_waitcnt vmcnt(13)
	v_add_co_u32 v1, vcc_lo, v3, v1
	v_add_co_ci_u32_e64 v2, null, v4, v2, vcc_lo
	;; [unrolled: 3-line block ×15, first 2 shown]
	v_mov_b32_dpp v3, v1 quad_perm:[1,0,3,2] row_mask:0xf bank_mask:0xf
	v_add_co_u32 v1, vcc_lo, v1, v3
	v_mov_b32_dpp v3, v2 quad_perm:[1,0,3,2] row_mask:0xf bank_mask:0xf
	v_add_co_ci_u32_e64 v2, null, 0, v2, vcc_lo
	v_mov_b32_dpp v4, v1 quad_perm:[2,3,0,1] row_mask:0xf bank_mask:0xf
	v_add_co_u32 v1, vcc_lo, 0, v1
	v_add_co_ci_u32_e64 v2, null, v3, v2, vcc_lo
	v_add_co_u32 v1, vcc_lo, v1, v4
	v_mov_b32_dpp v3, v2 quad_perm:[2,3,0,1] row_mask:0xf bank_mask:0xf
	v_add_co_ci_u32_e64 v2, null, 0, v2, vcc_lo
	v_mov_b32_dpp v4, v1 row_ror:4 row_mask:0xf bank_mask:0xf
	v_add_co_u32 v1, vcc_lo, v1, 0
	v_add_co_ci_u32_e64 v2, null, v2, v3, vcc_lo
	v_add_co_u32 v1, vcc_lo, v1, v4
	v_mov_b32_dpp v3, v2 row_ror:4 row_mask:0xf bank_mask:0xf
	v_add_co_ci_u32_e64 v2, null, 0, v2, vcc_lo
	v_mov_b32_dpp v4, v1 row_ror:8 row_mask:0xf bank_mask:0xf
	v_add_co_u32 v1, vcc_lo, v1, 0
	v_add_co_ci_u32_e64 v2, null, v2, v3, vcc_lo
	v_add_co_u32 v1, vcc_lo, v1, v4
	v_mov_b32_dpp v3, v2 row_ror:8 row_mask:0xf bank_mask:0xf
	v_add_co_ci_u32_e64 v2, null, 0, v2, vcc_lo
	ds_swizzle_b32 v4, v1 offset:swizzle(BROADCAST,32,15)
	v_add_co_u32 v1, vcc_lo, v1, 0
	v_add_co_ci_u32_e64 v2, null, v2, v3, vcc_lo
	ds_swizzle_b32 v3, v2 offset:swizzle(BROADCAST,32,15)
	s_waitcnt lgkmcnt(1)
	v_add_co_u32 v1, vcc_lo, v1, v4
	v_add_co_ci_u32_e64 v2, null, 0, v2, vcc_lo
	v_mov_b32_e32 v4, 0
	s_waitcnt lgkmcnt(0)
	v_add_nc_u32_e32 v2, v3, v2
	ds_bpermute_b32 v1, v4, v1 offset:124
	v_mbcnt_lo_u32_b32 v3, -1, 0
	ds_bpermute_b32 v2, v4, v2 offset:124
	v_cmpx_eq_u32_e32 0, v3
	s_cbranch_execz .LBB37_7
; %bb.6:
	v_lshrrev_b32_e32 v4, 2, v0
	v_and_b32_e32 v4, 56, v4
	s_waitcnt lgkmcnt(0)
	ds_write_b64 v4, v[1:2]
.LBB37_7:
	s_or_b32 exec_lo, exec_lo, s1
	s_mov_b32 s1, exec_lo
	s_waitcnt lgkmcnt(0)
	s_barrier
	buffer_gl0_inv
	v_cmpx_gt_u32_e32 32, v0
	s_cbranch_execz .LBB37_9
; %bb.8:
	v_and_b32_e32 v4, 7, v3
	v_lshlrev_b32_e32 v1, 3, v4
	v_cmp_ne_u32_e32 vcc_lo, 7, v4
	ds_read_b64 v[1:2], v1
	v_add_co_ci_u32_e64 v5, null, 0, v3, vcc_lo
	v_cmp_gt_u32_e32 vcc_lo, 6, v4
	v_lshlrev_b32_e32 v5, 2, v5
	v_cndmask_b32_e64 v4, 0, 2, vcc_lo
	v_add_lshl_u32 v4, v4, v3, 2
	v_lshlrev_b32_e32 v3, 2, v3
	v_or_b32_e32 v3, 16, v3
	s_waitcnt lgkmcnt(0)
	ds_bpermute_b32 v6, v5, v1
	ds_bpermute_b32 v5, v5, v2
	s_waitcnt lgkmcnt(1)
	v_add_co_u32 v1, vcc_lo, v1, v6
	v_add_co_ci_u32_e64 v2, null, 0, v2, vcc_lo
	ds_bpermute_b32 v6, v4, v1
	v_add_co_u32 v1, vcc_lo, 0, v1
	s_waitcnt lgkmcnt(1)
	v_add_co_ci_u32_e64 v2, null, v5, v2, vcc_lo
	ds_bpermute_b32 v4, v4, v2
	s_waitcnt lgkmcnt(1)
	v_add_co_u32 v1, vcc_lo, v1, v6
	v_add_co_ci_u32_e64 v2, null, 0, v2, vcc_lo
	ds_bpermute_b32 v5, v3, v1
	v_add_co_u32 v1, vcc_lo, v1, 0
	s_waitcnt lgkmcnt(1)
	v_add_co_ci_u32_e64 v2, null, v2, v4, vcc_lo
	ds_bpermute_b32 v3, v3, v2
	s_waitcnt lgkmcnt(1)
	v_add_co_u32 v1, vcc_lo, v1, v5
	v_add_co_ci_u32_e64 v2, null, 0, v2, vcc_lo
	v_add_co_u32 v1, vcc_lo, v1, 0
	s_waitcnt lgkmcnt(0)
	v_add_co_ci_u32_e64 v2, null, v2, v3, vcc_lo
.LBB37_9:
	s_or_b32 exec_lo, exec_lo, s1
	s_mov_b32 s1, 0
	s_branch .LBB37_22
.LBB37_10:
	s_mov_b32 s0, 0
                                        ; implicit-def: $vgpr1_vgpr2
                                        ; implicit-def: $vgpr3_vgpr4
	s_cbranch_execnz .LBB37_157
	s_branch .LBB37_226
.LBB37_11:
	s_mov_b32 s0, 0
                                        ; implicit-def: $vgpr1_vgpr2
                                        ; implicit-def: $vgpr3_vgpr4
	s_cbranch_execnz .LBB37_118
	s_branch .LBB37_156
.LBB37_12:
	s_mov_b32 s27, -1
	s_mov_b32 s0, 0
                                        ; implicit-def: $vgpr1_vgpr2
                                        ; implicit-def: $vgpr3_vgpr4
.LBB37_13:
	s_and_b32 vcc_lo, exec_lo, s27
	s_cbranch_vccz .LBB37_117
.LBB37_14:
	s_cmp_eq_u32 s26, 8
                                        ; implicit-def: $vgpr1_vgpr2
                                        ; implicit-def: $vgpr3_vgpr4
	s_cbranch_scc0 .LBB37_117
; %bb.15:
	s_mov_b32 s7, 0
	s_lshl_b32 s0, s6, 11
	s_mov_b32 s1, s7
	s_lshr_b64 s[4:5], s[18:19], 11
	s_lshl_b64 s[2:3], s[0:1], 3
	s_add_u32 s8, s16, s2
	s_addc_u32 s9, s17, s3
	s_cmp_lg_u64 s[4:5], s[6:7]
	s_cbranch_scc0 .LBB37_77
; %bb.16:
	v_lshlrev_b32_e32 v3, 3, v0
	v_add_co_u32 v15, s1, s8, v3
	v_add_co_ci_u32_e64 v16, null, s9, 0, s1
	s_mov_b32 s1, exec_lo
	v_add_co_u32 v1, vcc_lo, v15, 0x1000
	v_add_co_ci_u32_e64 v2, null, 0, v16, vcc_lo
	v_add_co_u32 v7, vcc_lo, v15, 0x2000
	s_clause 0x1
	global_load_dwordx2 v[3:4], v3, s[8:9]
	global_load_dwordx2 v[5:6], v[1:2], off offset:-2048
	v_add_co_ci_u32_e64 v8, null, 0, v16, vcc_lo
	s_clause 0x1
	global_load_dwordx2 v[1:2], v[1:2], off
	global_load_dwordx2 v[9:10], v[7:8], off offset:-2048
	v_add_co_u32 v11, vcc_lo, v15, 0x3000
	v_add_co_ci_u32_e64 v12, null, 0, v16, vcc_lo
	s_clause 0x1
	global_load_dwordx2 v[7:8], v[7:8], off
	global_load_dwordx2 v[13:14], v[11:12], off offset:-2048
	v_add_co_u32 v15, vcc_lo, 0x3800, v15
	v_add_co_ci_u32_e64 v16, null, 0, v16, vcc_lo
	s_clause 0x1
	global_load_dwordx2 v[11:12], v[11:12], off
	global_load_dwordx2 v[15:16], v[15:16], off
	s_waitcnt vmcnt(6)
	v_add_co_u32 v3, vcc_lo, v5, v3
	v_add_co_ci_u32_e64 v4, null, v6, v4, vcc_lo
	s_waitcnt vmcnt(5)
	v_add_co_u32 v1, vcc_lo, v3, v1
	v_add_co_ci_u32_e64 v2, null, v4, v2, vcc_lo
	;; [unrolled: 3-line block ×7, first 2 shown]
	v_mov_b32_dpp v3, v1 quad_perm:[1,0,3,2] row_mask:0xf bank_mask:0xf
	v_add_co_u32 v1, vcc_lo, v1, v3
	v_mov_b32_dpp v3, v2 quad_perm:[1,0,3,2] row_mask:0xf bank_mask:0xf
	v_add_co_ci_u32_e64 v2, null, 0, v2, vcc_lo
	v_mov_b32_dpp v4, v1 quad_perm:[2,3,0,1] row_mask:0xf bank_mask:0xf
	v_add_co_u32 v1, vcc_lo, 0, v1
	v_add_co_ci_u32_e64 v2, null, v3, v2, vcc_lo
	v_add_co_u32 v1, vcc_lo, v1, v4
	v_mov_b32_dpp v3, v2 quad_perm:[2,3,0,1] row_mask:0xf bank_mask:0xf
	v_add_co_ci_u32_e64 v2, null, 0, v2, vcc_lo
	v_mov_b32_dpp v4, v1 row_ror:4 row_mask:0xf bank_mask:0xf
	v_add_co_u32 v1, vcc_lo, v1, 0
	v_add_co_ci_u32_e64 v2, null, v2, v3, vcc_lo
	v_add_co_u32 v1, vcc_lo, v1, v4
	v_mov_b32_dpp v3, v2 row_ror:4 row_mask:0xf bank_mask:0xf
	v_add_co_ci_u32_e64 v2, null, 0, v2, vcc_lo
	v_mov_b32_dpp v4, v1 row_ror:8 row_mask:0xf bank_mask:0xf
	v_add_co_u32 v1, vcc_lo, v1, 0
	v_add_co_ci_u32_e64 v2, null, v2, v3, vcc_lo
	v_add_co_u32 v1, vcc_lo, v1, v4
	v_mov_b32_dpp v3, v2 row_ror:8 row_mask:0xf bank_mask:0xf
	v_add_co_ci_u32_e64 v2, null, 0, v2, vcc_lo
	ds_swizzle_b32 v4, v1 offset:swizzle(BROADCAST,32,15)
	v_add_co_u32 v1, vcc_lo, v1, 0
	v_add_co_ci_u32_e64 v2, null, v2, v3, vcc_lo
	ds_swizzle_b32 v3, v2 offset:swizzle(BROADCAST,32,15)
	s_waitcnt lgkmcnt(1)
	v_add_co_u32 v1, vcc_lo, v1, v4
	v_add_co_ci_u32_e64 v2, null, 0, v2, vcc_lo
	v_mov_b32_e32 v4, 0
	s_waitcnt lgkmcnt(0)
	v_add_nc_u32_e32 v2, v3, v2
	ds_bpermute_b32 v1, v4, v1 offset:124
	v_mbcnt_lo_u32_b32 v3, -1, 0
	ds_bpermute_b32 v2, v4, v2 offset:124
	v_cmpx_eq_u32_e32 0, v3
	s_cbranch_execz .LBB37_18
; %bb.17:
	v_lshrrev_b32_e32 v4, 2, v0
	v_and_b32_e32 v4, 56, v4
	s_waitcnt lgkmcnt(0)
	ds_write_b64 v4, v[1:2] offset:256
.LBB37_18:
	s_or_b32 exec_lo, exec_lo, s1
	s_mov_b32 s1, exec_lo
	s_waitcnt lgkmcnt(0)
	s_barrier
	buffer_gl0_inv
	v_cmpx_gt_u32_e32 32, v0
	s_cbranch_execz .LBB37_20
; %bb.19:
	v_and_b32_e32 v4, 7, v3
	v_lshlrev_b32_e32 v1, 3, v4
	v_cmp_ne_u32_e32 vcc_lo, 7, v4
	ds_read_b64 v[1:2], v1 offset:256
	v_add_co_ci_u32_e64 v5, null, 0, v3, vcc_lo
	v_cmp_gt_u32_e32 vcc_lo, 6, v4
	v_lshlrev_b32_e32 v5, 2, v5
	v_cndmask_b32_e64 v4, 0, 2, vcc_lo
	v_add_lshl_u32 v4, v4, v3, 2
	v_lshlrev_b32_e32 v3, 2, v3
	v_or_b32_e32 v3, 16, v3
	s_waitcnt lgkmcnt(0)
	ds_bpermute_b32 v6, v5, v1
	ds_bpermute_b32 v5, v5, v2
	s_waitcnt lgkmcnt(1)
	v_add_co_u32 v1, vcc_lo, v1, v6
	v_add_co_ci_u32_e64 v2, null, 0, v2, vcc_lo
	ds_bpermute_b32 v6, v4, v1
	v_add_co_u32 v1, vcc_lo, 0, v1
	s_waitcnt lgkmcnt(1)
	v_add_co_ci_u32_e64 v2, null, v5, v2, vcc_lo
	ds_bpermute_b32 v4, v4, v2
	s_waitcnt lgkmcnt(1)
	v_add_co_u32 v1, vcc_lo, v1, v6
	v_add_co_ci_u32_e64 v2, null, 0, v2, vcc_lo
	ds_bpermute_b32 v5, v3, v1
	v_add_co_u32 v1, vcc_lo, v1, 0
	s_waitcnt lgkmcnt(1)
	v_add_co_ci_u32_e64 v2, null, v2, v4, vcc_lo
	ds_bpermute_b32 v3, v3, v2
	s_waitcnt lgkmcnt(1)
	v_add_co_u32 v1, vcc_lo, v1, v5
	v_add_co_ci_u32_e64 v2, null, 0, v2, vcc_lo
	v_add_co_u32 v1, vcc_lo, v1, 0
	s_waitcnt lgkmcnt(0)
	v_add_co_ci_u32_e64 v2, null, v2, v3, vcc_lo
.LBB37_20:
	s_or_b32 exec_lo, exec_lo, s1
	s_mov_b32 s1, 0
	s_branch .LBB37_78
.LBB37_21:
	s_mov_b32 s1, -1
                                        ; implicit-def: $vgpr1_vgpr2
.LBB37_22:
	s_and_b32 vcc_lo, exec_lo, s1
	s_cbranch_vccz .LBB37_76
; %bb.23:
	v_mov_b32_e32 v1, 0
	s_sub_i32 s28, s18, s0
	v_cmp_gt_u32_e32 vcc_lo, s28, v0
	v_mov_b32_e32 v2, v1
	v_mov_b32_e32 v3, v1
	;; [unrolled: 1-line block ×31, first 2 shown]
	s_and_saveexec_b32 s0, vcc_lo
	s_cbranch_execz .LBB37_25
; %bb.24:
	v_lshlrev_b32_e32 v2, 3, v0
	v_mov_b32_e32 v33, v1
	v_mov_b32_e32 v4, v1
	v_mov_b32_e32 v5, v1
	v_mov_b32_e32 v6, v1
	global_load_dwordx2 v[2:3], v2, s[24:25]
	v_mov_b32_e32 v7, v1
	v_mov_b32_e32 v8, v1
	;; [unrolled: 1-line block ×26, first 2 shown]
	s_waitcnt vmcnt(0)
	v_mov_b32_e32 v1, v2
	v_mov_b32_e32 v2, v3
	;; [unrolled: 1-line block ×32, first 2 shown]
.LBB37_25:
	s_or_b32 exec_lo, exec_lo, s0
	v_or_b32_e32 v33, 0x100, v0
	v_cmp_gt_u32_e32 vcc_lo, s28, v33
	s_and_saveexec_b32 s0, vcc_lo
	s_cbranch_execz .LBB37_27
; %bb.26:
	v_lshlrev_b32_e32 v3, 3, v33
	global_load_dwordx2 v[3:4], v3, s[24:25]
.LBB37_27:
	s_or_b32 exec_lo, exec_lo, s0
	v_or_b32_e32 v33, 0x200, v0
	v_cmp_gt_u32_e64 s0, s28, v33
	s_and_saveexec_b32 s1, s0
	s_cbranch_execz .LBB37_29
; %bb.28:
	v_lshlrev_b32_e32 v5, 3, v33
	global_load_dwordx2 v[5:6], v5, s[24:25]
.LBB37_29:
	s_or_b32 exec_lo, exec_lo, s1
	v_or_b32_e32 v33, 0x300, v0
	v_cmp_gt_u32_e64 s1, s28, v33
	s_and_saveexec_b32 s2, s1
	;; [unrolled: 9-line block ×14, first 2 shown]
	s_cbranch_execz .LBB37_55
; %bb.54:
	v_lshlrev_b32_e32 v31, 3, v33
	global_load_dwordx2 v[31:32], v31, s[24:25]
.LBB37_55:
	s_or_b32 exec_lo, exec_lo, s29
	s_waitcnt vmcnt(0)
	v_cndmask_b32_e32 v3, 0, v3, vcc_lo
	v_cndmask_b32_e32 v4, 0, v4, vcc_lo
	v_cndmask_b32_e64 v5, 0, v5, s0
	v_cndmask_b32_e64 v6, 0, v6, s0
	s_min_u32 s0, s28, 0x100
	v_add_co_u32 v1, vcc_lo, v3, v1
	v_add_co_ci_u32_e64 v2, null, v4, v2, vcc_lo
	v_cndmask_b32_e64 v3, 0, v7, s1
	v_add_co_u32 v1, vcc_lo, v1, v5
	v_add_co_ci_u32_e64 v2, null, v2, v6, vcc_lo
	v_cndmask_b32_e64 v4, 0, v8, s1
	v_cndmask_b32_e64 v5, 0, v9, s2
	v_add_co_u32 v1, vcc_lo, v1, v3
	v_cndmask_b32_e64 v3, 0, v10, s2
	v_add_co_ci_u32_e64 v2, null, v2, v4, vcc_lo
	v_cndmask_b32_e64 v4, 0, v11, s3
	v_add_co_u32 v1, vcc_lo, v1, v5
	v_add_co_ci_u32_e64 v2, null, v2, v3, vcc_lo
	v_cndmask_b32_e64 v3, 0, v12, s3
	v_cndmask_b32_e64 v5, 0, v13, s4
	v_add_co_u32 v1, vcc_lo, v1, v4
	v_cndmask_b32_e64 v4, 0, v15, s5
	v_add_co_ci_u32_e64 v2, null, v2, v3, vcc_lo
	v_cndmask_b32_e64 v3, 0, v14, s4
	v_add_co_u32 v1, vcc_lo, v1, v5
	v_cndmask_b32_e64 v5, 0, v17, s8
	v_cndmask_b32_e64 v6, 0, v31, s15
	v_add_co_ci_u32_e64 v2, null, v2, v3, vcc_lo
	v_cndmask_b32_e64 v3, 0, v16, s5
	v_add_co_u32 v1, vcc_lo, v1, v4
	v_cndmask_b32_e64 v4, 0, v19, s9
	v_add_co_ci_u32_e64 v2, null, v2, v3, vcc_lo
	v_cndmask_b32_e64 v3, 0, v18, s8
	v_add_co_u32 v1, vcc_lo, v1, v5
	v_cndmask_b32_e64 v5, 0, v21, s10
	v_add_co_ci_u32_e64 v2, null, v2, v3, vcc_lo
	v_cndmask_b32_e64 v3, 0, v20, s9
	v_add_co_u32 v1, vcc_lo, v1, v4
	v_cndmask_b32_e64 v4, 0, v23, s11
	v_add_co_ci_u32_e64 v2, null, v2, v3, vcc_lo
	v_cndmask_b32_e64 v3, 0, v22, s10
	v_add_co_u32 v1, vcc_lo, v1, v5
	v_cndmask_b32_e64 v5, 0, v25, s12
	v_add_co_ci_u32_e64 v2, null, v2, v3, vcc_lo
	v_cndmask_b32_e64 v3, 0, v24, s11
	v_add_co_u32 v1, vcc_lo, v1, v4
	v_cndmask_b32_e64 v4, 0, v27, s13
	v_add_co_ci_u32_e64 v2, null, v2, v3, vcc_lo
	v_cndmask_b32_e64 v3, 0, v26, s12
	v_add_co_u32 v1, vcc_lo, v1, v5
	v_cndmask_b32_e64 v5, 0, v28, s13
	v_add_co_ci_u32_e64 v2, null, v2, v3, vcc_lo
	v_mbcnt_lo_u32_b32 v3, -1, 0
	v_add_co_u32 v1, vcc_lo, v1, v4
	v_add_co_ci_u32_e64 v2, null, v2, v5, vcc_lo
	v_cndmask_b32_e64 v5, 0, v29, s14
	v_cmp_ne_u32_e32 vcc_lo, 31, v3
	v_cndmask_b32_e64 v4, 0, v30, s14
	v_add_co_ci_u32_e64 v7, null, 0, v3, vcc_lo
	v_add_co_u32 v1, vcc_lo, v1, v5
	v_add_co_ci_u32_e64 v2, null, v2, v4, vcc_lo
	v_cndmask_b32_e64 v4, 0, v32, s15
	v_add_co_u32 v1, vcc_lo, v1, v6
	v_lshlrev_b32_e32 v5, 2, v7
	v_add_nc_u32_e32 v6, 1, v3
	v_add_co_ci_u32_e64 v2, null, v2, v4, vcc_lo
	v_and_b32_e32 v4, 0xe0, v0
	ds_bpermute_b32 v7, v5, v1
	ds_bpermute_b32 v5, v5, v2
	v_sub_nc_u32_e64 v4, s0, v4 clamp
	v_cmp_lt_u32_e32 vcc_lo, v6, v4
	v_mov_b32_e32 v6, v1
	s_and_saveexec_b32 s1, vcc_lo
	s_cbranch_execz .LBB37_57
; %bb.56:
	s_waitcnt lgkmcnt(1)
	v_add_co_u32 v6, vcc_lo, v1, v7
	v_add_co_ci_u32_e64 v2, null, 0, v2, vcc_lo
	v_add_co_u32 v1, vcc_lo, v6, 0
	s_waitcnt lgkmcnt(0)
	v_add_co_ci_u32_e64 v2, null, v2, v5, vcc_lo
.LBB37_57:
	s_or_b32 exec_lo, exec_lo, s1
	v_cmp_gt_u32_e32 vcc_lo, 30, v3
	v_add_nc_u32_e32 v8, 2, v3
	s_mov_b32 s1, exec_lo
	s_waitcnt lgkmcnt(0)
	v_cndmask_b32_e64 v5, 0, 2, vcc_lo
	v_add_lshl_u32 v5, v5, v3, 2
	ds_bpermute_b32 v7, v5, v6
	ds_bpermute_b32 v5, v5, v2
	v_cmpx_lt_u32_e64 v8, v4
	s_cbranch_execz .LBB37_59
; %bb.58:
	s_waitcnt lgkmcnt(1)
	v_add_co_u32 v6, vcc_lo, v1, v7
	v_add_co_ci_u32_e64 v2, null, 0, v2, vcc_lo
	v_add_co_u32 v1, vcc_lo, 0, v6
	s_waitcnt lgkmcnt(0)
	v_add_co_ci_u32_e64 v2, null, v5, v2, vcc_lo
.LBB37_59:
	s_or_b32 exec_lo, exec_lo, s1
	v_cmp_gt_u32_e32 vcc_lo, 28, v3
	v_add_nc_u32_e32 v8, 4, v3
	s_mov_b32 s1, exec_lo
	s_waitcnt lgkmcnt(0)
	v_cndmask_b32_e64 v5, 0, 4, vcc_lo
	v_add_lshl_u32 v5, v5, v3, 2
	ds_bpermute_b32 v7, v5, v6
	ds_bpermute_b32 v5, v5, v2
	v_cmpx_lt_u32_e64 v8, v4
	;; [unrolled: 19-line block ×3, first 2 shown]
	s_cbranch_execz .LBB37_63
; %bb.62:
	s_waitcnt lgkmcnt(1)
	v_add_co_u32 v6, vcc_lo, v1, v7
	v_add_co_ci_u32_e64 v2, null, 0, v2, vcc_lo
	v_add_co_u32 v1, vcc_lo, 0, v6
	s_waitcnt lgkmcnt(0)
	v_add_co_ci_u32_e64 v2, null, v5, v2, vcc_lo
.LBB37_63:
	s_or_b32 exec_lo, exec_lo, s1
	s_waitcnt lgkmcnt(0)
	v_lshlrev_b32_e32 v5, 2, v3
	s_mov_b32 s1, exec_lo
	v_or_b32_e32 v8, 64, v5
	ds_bpermute_b32 v7, v8, v6
	ds_bpermute_b32 v6, v8, v2
	v_add_nc_u32_e32 v8, 16, v3
	v_cmpx_lt_u32_e64 v8, v4
	s_cbranch_execz .LBB37_65
; %bb.64:
	s_waitcnt lgkmcnt(1)
	v_add_co_u32 v1, vcc_lo, v1, v7
	v_add_co_ci_u32_e64 v2, null, 0, v2, vcc_lo
	v_add_co_u32 v1, vcc_lo, v1, 0
	s_waitcnt lgkmcnt(0)
	v_add_co_ci_u32_e64 v2, null, v2, v6, vcc_lo
.LBB37_65:
	s_or_b32 exec_lo, exec_lo, s1
	s_mov_b32 s1, exec_lo
	v_cmpx_eq_u32_e32 0, v3
; %bb.66:
	v_lshrrev_b32_e32 v4, 2, v0
	v_and_b32_e32 v4, 56, v4
	ds_write_b64 v4, v[1:2] offset:320
; %bb.67:
	s_or_b32 exec_lo, exec_lo, s1
	s_mov_b32 s1, exec_lo
	s_waitcnt lgkmcnt(0)
	s_barrier
	buffer_gl0_inv
	v_cmpx_gt_u32_e32 8, v0
	s_cbranch_execz .LBB37_75
; %bb.68:
	v_lshlrev_b32_e32 v1, 3, v3
	v_and_b32_e32 v4, 7, v3
	s_add_i32 s0, s0, 31
	s_lshr_b32 s0, s0, 5
	ds_read_b64 v[1:2], v1 offset:320
	v_cmp_ne_u32_e32 vcc_lo, 7, v4
	v_add_co_ci_u32_e64 v6, null, 0, v3, vcc_lo
	v_lshlrev_b32_e32 v6, 2, v6
	s_waitcnt lgkmcnt(0)
	ds_bpermute_b32 v8, v6, v1
	ds_bpermute_b32 v7, v6, v2
	v_add_nc_u32_e32 v6, 1, v4
	v_cmp_gt_u32_e32 vcc_lo, s0, v6
	v_mov_b32_e32 v6, v1
	s_and_saveexec_b32 s2, vcc_lo
	s_cbranch_execz .LBB37_70
; %bb.69:
	s_waitcnt lgkmcnt(1)
	v_add_co_u32 v6, vcc_lo, v1, v8
	v_add_co_ci_u32_e64 v2, null, 0, v2, vcc_lo
	v_add_co_u32 v1, vcc_lo, 0, v6
	s_waitcnt lgkmcnt(0)
	v_add_co_ci_u32_e64 v2, null, v7, v2, vcc_lo
.LBB37_70:
	s_or_b32 exec_lo, exec_lo, s2
	v_cmp_gt_u32_e32 vcc_lo, 6, v4
	s_waitcnt lgkmcnt(1)
	v_add_nc_u32_e32 v8, 2, v4
	s_mov_b32 s2, exec_lo
	s_waitcnt lgkmcnt(0)
	v_cndmask_b32_e64 v7, 0, 2, vcc_lo
	v_add_lshl_u32 v3, v7, v3, 2
	ds_bpermute_b32 v7, v3, v6
	ds_bpermute_b32 v3, v3, v2
	v_cmpx_gt_u32_e64 s0, v8
	s_cbranch_execz .LBB37_72
; %bb.71:
	s_waitcnt lgkmcnt(1)
	v_add_co_u32 v6, vcc_lo, v1, v7
	v_add_co_ci_u32_e64 v2, null, 0, v2, vcc_lo
	v_add_co_u32 v1, vcc_lo, 0, v6
	s_waitcnt lgkmcnt(0)
	v_add_co_ci_u32_e64 v2, null, v3, v2, vcc_lo
.LBB37_72:
	s_or_b32 exec_lo, exec_lo, s2
	s_waitcnt lgkmcnt(0)
	v_or_b32_e32 v3, 16, v5
	v_add_nc_u32_e32 v4, 4, v4
	ds_bpermute_b32 v5, v3, v6
	ds_bpermute_b32 v3, v3, v2
	v_cmp_gt_u32_e32 vcc_lo, s0, v4
	s_and_saveexec_b32 s0, vcc_lo
	s_cbranch_execz .LBB37_74
; %bb.73:
	s_waitcnt lgkmcnt(1)
	v_add_co_u32 v1, vcc_lo, v1, v5
	v_add_co_ci_u32_e64 v2, null, 0, v2, vcc_lo
	v_add_co_u32 v1, vcc_lo, v1, 0
	s_waitcnt lgkmcnt(0)
	v_add_co_ci_u32_e64 v2, null, v2, v3, vcc_lo
.LBB37_74:
	s_or_b32 exec_lo, exec_lo, s0
.LBB37_75:
	s_or_b32 exec_lo, exec_lo, s1
.LBB37_76:
	s_waitcnt lgkmcnt(0)
	v_mov_b32_e32 v3, s6
	v_cmp_eq_u32_e64 s0, 0, v0
	v_mov_b32_e32 v4, s7
	s_and_b32 vcc_lo, exec_lo, s27
	s_cbranch_vccnz .LBB37_14
	s_branch .LBB37_117
.LBB37_77:
	s_mov_b32 s1, -1
                                        ; implicit-def: $vgpr1_vgpr2
.LBB37_78:
	s_and_b32 vcc_lo, exec_lo, s1
	s_cbranch_vccz .LBB37_116
; %bb.79:
	v_mov_b32_e32 v1, 0
	s_sub_i32 s10, s18, s0
	s_mov_b32 s0, exec_lo
	v_mov_b32_e32 v2, v1
	v_mov_b32_e32 v3, v1
	;; [unrolled: 1-line block ×15, first 2 shown]
	v_cmpx_gt_u32_e64 s10, v0
	s_cbranch_execz .LBB37_81
; %bb.80:
	v_lshlrev_b32_e32 v2, 3, v0
	v_mov_b32_e32 v17, v1
	v_mov_b32_e32 v4, v1
	;; [unrolled: 1-line block ×4, first 2 shown]
	global_load_dwordx2 v[2:3], v2, s[8:9]
	v_mov_b32_e32 v7, v1
	v_mov_b32_e32 v8, v1
	;; [unrolled: 1-line block ×10, first 2 shown]
	s_waitcnt vmcnt(0)
	v_mov_b32_e32 v1, v2
	v_mov_b32_e32 v2, v3
	v_mov_b32_e32 v3, v4
	v_mov_b32_e32 v4, v5
	v_mov_b32_e32 v5, v6
	v_mov_b32_e32 v6, v7
	v_mov_b32_e32 v7, v8
	v_mov_b32_e32 v8, v9
	v_mov_b32_e32 v9, v10
	v_mov_b32_e32 v10, v11
	v_mov_b32_e32 v11, v12
	v_mov_b32_e32 v12, v13
	v_mov_b32_e32 v13, v14
	v_mov_b32_e32 v14, v15
	v_mov_b32_e32 v15, v16
	v_mov_b32_e32 v16, v17
.LBB37_81:
	s_or_b32 exec_lo, exec_lo, s0
	v_or_b32_e32 v17, 0x100, v0
	v_cmp_gt_u32_e32 vcc_lo, s10, v17
	s_and_saveexec_b32 s0, vcc_lo
	s_cbranch_execz .LBB37_83
; %bb.82:
	v_lshlrev_b32_e32 v3, 3, v17
	global_load_dwordx2 v[3:4], v3, s[8:9]
.LBB37_83:
	s_or_b32 exec_lo, exec_lo, s0
	v_or_b32_e32 v17, 0x200, v0
	v_cmp_gt_u32_e64 s0, s10, v17
	s_and_saveexec_b32 s1, s0
	s_cbranch_execz .LBB37_85
; %bb.84:
	v_lshlrev_b32_e32 v5, 3, v17
	global_load_dwordx2 v[5:6], v5, s[8:9]
.LBB37_85:
	s_or_b32 exec_lo, exec_lo, s1
	v_or_b32_e32 v17, 0x300, v0
	v_cmp_gt_u32_e64 s1, s10, v17
	s_and_saveexec_b32 s2, s1
	;; [unrolled: 9-line block ×6, first 2 shown]
	s_cbranch_execz .LBB37_95
; %bb.94:
	v_lshlrev_b32_e32 v15, 3, v17
	global_load_dwordx2 v[15:16], v15, s[8:9]
.LBB37_95:
	s_or_b32 exec_lo, exec_lo, s11
	s_waitcnt vmcnt(0)
	v_cndmask_b32_e32 v3, 0, v3, vcc_lo
	v_cndmask_b32_e32 v4, 0, v4, vcc_lo
	v_cndmask_b32_e64 v5, 0, v5, s0
	v_cndmask_b32_e64 v6, 0, v6, s0
	s_min_u32 s0, s10, 0x100
	v_add_co_u32 v1, vcc_lo, v3, v1
	v_add_co_ci_u32_e64 v2, null, v4, v2, vcc_lo
	v_cndmask_b32_e64 v3, 0, v7, s1
	v_add_co_u32 v1, vcc_lo, v1, v5
	v_add_co_ci_u32_e64 v2, null, v2, v6, vcc_lo
	v_cndmask_b32_e64 v4, 0, v8, s1
	v_cndmask_b32_e64 v5, 0, v9, s2
	v_add_co_u32 v1, vcc_lo, v1, v3
	v_cndmask_b32_e64 v3, 0, v10, s2
	v_add_co_ci_u32_e64 v2, null, v2, v4, vcc_lo
	v_cndmask_b32_e64 v4, 0, v11, s3
	v_add_co_u32 v1, vcc_lo, v1, v5
	v_add_co_ci_u32_e64 v2, null, v2, v3, vcc_lo
	v_cndmask_b32_e64 v5, 0, v12, s3
	v_mbcnt_lo_u32_b32 v3, -1, 0
	v_add_co_u32 v1, vcc_lo, v1, v4
	v_cndmask_b32_e64 v4, 0, v14, s4
	v_add_co_ci_u32_e64 v2, null, v2, v5, vcc_lo
	v_cndmask_b32_e64 v5, 0, v13, s4
	v_cmp_ne_u32_e32 vcc_lo, 31, v3
	v_cndmask_b32_e64 v6, 0, v15, s5
	v_add_co_ci_u32_e64 v7, null, 0, v3, vcc_lo
	v_add_co_u32 v1, vcc_lo, v1, v5
	v_add_co_ci_u32_e64 v2, null, v2, v4, vcc_lo
	v_cndmask_b32_e64 v4, 0, v16, s5
	v_add_co_u32 v1, vcc_lo, v1, v6
	v_lshlrev_b32_e32 v5, 2, v7
	v_add_nc_u32_e32 v6, 1, v3
	v_add_co_ci_u32_e64 v2, null, v2, v4, vcc_lo
	v_and_b32_e32 v4, 0xe0, v0
	ds_bpermute_b32 v7, v5, v1
	ds_bpermute_b32 v5, v5, v2
	v_sub_nc_u32_e64 v4, s0, v4 clamp
	v_cmp_lt_u32_e32 vcc_lo, v6, v4
	v_mov_b32_e32 v6, v1
	s_and_saveexec_b32 s1, vcc_lo
	s_cbranch_execz .LBB37_97
; %bb.96:
	s_waitcnt lgkmcnt(1)
	v_add_co_u32 v6, vcc_lo, v1, v7
	v_add_co_ci_u32_e64 v2, null, 0, v2, vcc_lo
	v_add_co_u32 v1, vcc_lo, v6, 0
	s_waitcnt lgkmcnt(0)
	v_add_co_ci_u32_e64 v2, null, v2, v5, vcc_lo
.LBB37_97:
	s_or_b32 exec_lo, exec_lo, s1
	v_cmp_gt_u32_e32 vcc_lo, 30, v3
	v_add_nc_u32_e32 v8, 2, v3
	s_mov_b32 s1, exec_lo
	s_waitcnt lgkmcnt(0)
	v_cndmask_b32_e64 v5, 0, 2, vcc_lo
	v_add_lshl_u32 v5, v5, v3, 2
	ds_bpermute_b32 v7, v5, v6
	ds_bpermute_b32 v5, v5, v2
	v_cmpx_lt_u32_e64 v8, v4
	s_cbranch_execz .LBB37_99
; %bb.98:
	s_waitcnt lgkmcnt(1)
	v_add_co_u32 v6, vcc_lo, v1, v7
	v_add_co_ci_u32_e64 v2, null, 0, v2, vcc_lo
	v_add_co_u32 v1, vcc_lo, 0, v6
	s_waitcnt lgkmcnt(0)
	v_add_co_ci_u32_e64 v2, null, v5, v2, vcc_lo
.LBB37_99:
	s_or_b32 exec_lo, exec_lo, s1
	v_cmp_gt_u32_e32 vcc_lo, 28, v3
	v_add_nc_u32_e32 v8, 4, v3
	s_mov_b32 s1, exec_lo
	s_waitcnt lgkmcnt(0)
	v_cndmask_b32_e64 v5, 0, 4, vcc_lo
	v_add_lshl_u32 v5, v5, v3, 2
	ds_bpermute_b32 v7, v5, v6
	ds_bpermute_b32 v5, v5, v2
	v_cmpx_lt_u32_e64 v8, v4
	;; [unrolled: 19-line block ×3, first 2 shown]
	s_cbranch_execz .LBB37_103
; %bb.102:
	s_waitcnt lgkmcnt(1)
	v_add_co_u32 v6, vcc_lo, v1, v7
	v_add_co_ci_u32_e64 v2, null, 0, v2, vcc_lo
	v_add_co_u32 v1, vcc_lo, 0, v6
	s_waitcnt lgkmcnt(0)
	v_add_co_ci_u32_e64 v2, null, v5, v2, vcc_lo
.LBB37_103:
	s_or_b32 exec_lo, exec_lo, s1
	s_waitcnt lgkmcnt(0)
	v_lshlrev_b32_e32 v5, 2, v3
	s_mov_b32 s1, exec_lo
	v_or_b32_e32 v8, 64, v5
	ds_bpermute_b32 v7, v8, v6
	ds_bpermute_b32 v6, v8, v2
	v_add_nc_u32_e32 v8, 16, v3
	v_cmpx_lt_u32_e64 v8, v4
	s_cbranch_execz .LBB37_105
; %bb.104:
	s_waitcnt lgkmcnt(1)
	v_add_co_u32 v1, vcc_lo, v1, v7
	v_add_co_ci_u32_e64 v2, null, 0, v2, vcc_lo
	v_add_co_u32 v1, vcc_lo, v1, 0
	s_waitcnt lgkmcnt(0)
	v_add_co_ci_u32_e64 v2, null, v2, v6, vcc_lo
.LBB37_105:
	s_or_b32 exec_lo, exec_lo, s1
	s_mov_b32 s1, exec_lo
	v_cmpx_eq_u32_e32 0, v3
; %bb.106:
	v_lshrrev_b32_e32 v4, 2, v0
	v_and_b32_e32 v4, 56, v4
	ds_write_b64 v4, v[1:2] offset:320
; %bb.107:
	s_or_b32 exec_lo, exec_lo, s1
	s_mov_b32 s1, exec_lo
	s_waitcnt lgkmcnt(0)
	s_barrier
	buffer_gl0_inv
	v_cmpx_gt_u32_e32 8, v0
	s_cbranch_execz .LBB37_115
; %bb.108:
	v_lshlrev_b32_e32 v1, 3, v3
	v_and_b32_e32 v4, 7, v3
	s_add_i32 s0, s0, 31
	s_lshr_b32 s0, s0, 5
	ds_read_b64 v[1:2], v1 offset:320
	v_cmp_ne_u32_e32 vcc_lo, 7, v4
	v_add_co_ci_u32_e64 v6, null, 0, v3, vcc_lo
	v_lshlrev_b32_e32 v6, 2, v6
	s_waitcnt lgkmcnt(0)
	ds_bpermute_b32 v8, v6, v1
	ds_bpermute_b32 v7, v6, v2
	v_add_nc_u32_e32 v6, 1, v4
	v_cmp_gt_u32_e32 vcc_lo, s0, v6
	v_mov_b32_e32 v6, v1
	s_and_saveexec_b32 s2, vcc_lo
	s_cbranch_execz .LBB37_110
; %bb.109:
	s_waitcnt lgkmcnt(1)
	v_add_co_u32 v6, vcc_lo, v1, v8
	v_add_co_ci_u32_e64 v2, null, 0, v2, vcc_lo
	v_add_co_u32 v1, vcc_lo, 0, v6
	s_waitcnt lgkmcnt(0)
	v_add_co_ci_u32_e64 v2, null, v7, v2, vcc_lo
.LBB37_110:
	s_or_b32 exec_lo, exec_lo, s2
	v_cmp_gt_u32_e32 vcc_lo, 6, v4
	s_waitcnt lgkmcnt(1)
	v_add_nc_u32_e32 v8, 2, v4
	s_mov_b32 s2, exec_lo
	s_waitcnt lgkmcnt(0)
	v_cndmask_b32_e64 v7, 0, 2, vcc_lo
	v_add_lshl_u32 v3, v7, v3, 2
	ds_bpermute_b32 v7, v3, v6
	ds_bpermute_b32 v3, v3, v2
	v_cmpx_gt_u32_e64 s0, v8
	s_cbranch_execz .LBB37_112
; %bb.111:
	s_waitcnt lgkmcnt(1)
	v_add_co_u32 v6, vcc_lo, v1, v7
	v_add_co_ci_u32_e64 v2, null, 0, v2, vcc_lo
	v_add_co_u32 v1, vcc_lo, 0, v6
	s_waitcnt lgkmcnt(0)
	v_add_co_ci_u32_e64 v2, null, v3, v2, vcc_lo
.LBB37_112:
	s_or_b32 exec_lo, exec_lo, s2
	s_waitcnt lgkmcnt(0)
	v_or_b32_e32 v3, 16, v5
	v_add_nc_u32_e32 v4, 4, v4
	ds_bpermute_b32 v5, v3, v6
	ds_bpermute_b32 v3, v3, v2
	v_cmp_gt_u32_e32 vcc_lo, s0, v4
	s_and_saveexec_b32 s0, vcc_lo
	s_cbranch_execz .LBB37_114
; %bb.113:
	s_waitcnt lgkmcnt(1)
	v_add_co_u32 v1, vcc_lo, v1, v5
	v_add_co_ci_u32_e64 v2, null, 0, v2, vcc_lo
	v_add_co_u32 v1, vcc_lo, v1, 0
	s_waitcnt lgkmcnt(0)
	v_add_co_ci_u32_e64 v2, null, v2, v3, vcc_lo
.LBB37_114:
	s_or_b32 exec_lo, exec_lo, s0
.LBB37_115:
	s_or_b32 exec_lo, exec_lo, s1
.LBB37_116:
	s_waitcnt lgkmcnt(0)
	v_mov_b32_e32 v3, s6
	v_cmp_eq_u32_e64 s0, 0, v0
	v_mov_b32_e32 v4, s7
.LBB37_117:
	s_branch .LBB37_156
.LBB37_118:
	s_cmp_eq_u32 s26, 4
                                        ; implicit-def: $vgpr1_vgpr2
                                        ; implicit-def: $vgpr3_vgpr4
	s_cbranch_scc0 .LBB37_156
; %bb.119:
	s_mov_b32 s7, 0
	s_lshl_b32 s0, s6, 10
	s_mov_b32 s1, s7
	s_lshr_b64 s[4:5], s[18:19], 10
	s_lshl_b64 s[2:3], s[0:1], 3
	s_add_u32 s2, s16, s2
	s_addc_u32 s3, s17, s3
	s_cmp_lg_u64 s[4:5], s[6:7]
	s_cbranch_scc0 .LBB37_125
; %bb.120:
	v_lshlrev_b32_e32 v3, 3, v0
	v_add_co_u32 v7, s1, s2, v3
	v_add_co_ci_u32_e64 v8, null, s3, 0, s1
	s_mov_b32 s1, exec_lo
	v_add_co_u32 v1, vcc_lo, v7, 0x1000
	v_add_co_ci_u32_e64 v2, null, 0, v8, vcc_lo
	v_add_co_u32 v7, vcc_lo, 0x1800, v7
	s_clause 0x1
	global_load_dwordx2 v[3:4], v3, s[2:3]
	global_load_dwordx2 v[5:6], v[1:2], off offset:-2048
	v_add_co_ci_u32_e64 v8, null, 0, v8, vcc_lo
	s_clause 0x1
	global_load_dwordx2 v[1:2], v[1:2], off
	global_load_dwordx2 v[7:8], v[7:8], off
	s_waitcnt vmcnt(2)
	v_add_co_u32 v3, vcc_lo, v5, v3
	v_add_co_ci_u32_e64 v4, null, v6, v4, vcc_lo
	s_waitcnt vmcnt(1)
	v_add_co_u32 v1, vcc_lo, v3, v1
	v_add_co_ci_u32_e64 v2, null, v4, v2, vcc_lo
	;; [unrolled: 3-line block ×3, first 2 shown]
	v_mov_b32_dpp v3, v1 quad_perm:[1,0,3,2] row_mask:0xf bank_mask:0xf
	v_add_co_u32 v1, vcc_lo, v1, v3
	v_mov_b32_dpp v3, v2 quad_perm:[1,0,3,2] row_mask:0xf bank_mask:0xf
	v_add_co_ci_u32_e64 v2, null, 0, v2, vcc_lo
	v_mov_b32_dpp v4, v1 quad_perm:[2,3,0,1] row_mask:0xf bank_mask:0xf
	v_add_co_u32 v1, vcc_lo, 0, v1
	v_add_co_ci_u32_e64 v2, null, v3, v2, vcc_lo
	v_add_co_u32 v1, vcc_lo, v1, v4
	v_mov_b32_dpp v3, v2 quad_perm:[2,3,0,1] row_mask:0xf bank_mask:0xf
	v_add_co_ci_u32_e64 v2, null, 0, v2, vcc_lo
	v_mov_b32_dpp v4, v1 row_ror:4 row_mask:0xf bank_mask:0xf
	v_add_co_u32 v1, vcc_lo, v1, 0
	v_add_co_ci_u32_e64 v2, null, v2, v3, vcc_lo
	v_add_co_u32 v1, vcc_lo, v1, v4
	v_mov_b32_dpp v3, v2 row_ror:4 row_mask:0xf bank_mask:0xf
	v_add_co_ci_u32_e64 v2, null, 0, v2, vcc_lo
	v_mov_b32_dpp v4, v1 row_ror:8 row_mask:0xf bank_mask:0xf
	v_add_co_u32 v1, vcc_lo, v1, 0
	v_add_co_ci_u32_e64 v2, null, v2, v3, vcc_lo
	v_add_co_u32 v1, vcc_lo, v1, v4
	v_mov_b32_dpp v3, v2 row_ror:8 row_mask:0xf bank_mask:0xf
	v_add_co_ci_u32_e64 v2, null, 0, v2, vcc_lo
	ds_swizzle_b32 v4, v1 offset:swizzle(BROADCAST,32,15)
	v_add_co_u32 v1, vcc_lo, v1, 0
	v_add_co_ci_u32_e64 v2, null, v2, v3, vcc_lo
	ds_swizzle_b32 v3, v2 offset:swizzle(BROADCAST,32,15)
	s_waitcnt lgkmcnt(1)
	v_add_co_u32 v1, vcc_lo, v1, v4
	v_add_co_ci_u32_e64 v2, null, 0, v2, vcc_lo
	v_mov_b32_e32 v4, 0
	s_waitcnt lgkmcnt(0)
	v_add_nc_u32_e32 v2, v3, v2
	ds_bpermute_b32 v1, v4, v1 offset:124
	v_mbcnt_lo_u32_b32 v3, -1, 0
	ds_bpermute_b32 v2, v4, v2 offset:124
	v_cmpx_eq_u32_e32 0, v3
	s_cbranch_execz .LBB37_122
; %bb.121:
	v_lshrrev_b32_e32 v4, 2, v0
	v_and_b32_e32 v4, 56, v4
	s_waitcnt lgkmcnt(0)
	ds_write_b64 v4, v[1:2] offset:192
.LBB37_122:
	s_or_b32 exec_lo, exec_lo, s1
	s_mov_b32 s1, exec_lo
	s_waitcnt lgkmcnt(0)
	s_barrier
	buffer_gl0_inv
	v_cmpx_gt_u32_e32 32, v0
	s_cbranch_execz .LBB37_124
; %bb.123:
	v_lshl_or_b32 v1, v3, 3, 0xc0
	v_and_b32_e32 v4, 7, v3
	ds_read_b64 v[1:2], v1
	v_cmp_ne_u32_e32 vcc_lo, 7, v4
	v_add_co_ci_u32_e64 v5, null, 0, v3, vcc_lo
	v_cmp_gt_u32_e32 vcc_lo, 6, v4
	v_lshlrev_b32_e32 v5, 2, v5
	v_cndmask_b32_e64 v4, 0, 2, vcc_lo
	v_add_lshl_u32 v4, v4, v3, 2
	v_lshlrev_b32_e32 v3, 2, v3
	s_waitcnt lgkmcnt(0)
	ds_bpermute_b32 v6, v5, v1
	ds_bpermute_b32 v5, v5, v2
	v_or_b32_e32 v3, 16, v3
	s_waitcnt lgkmcnt(1)
	v_add_co_u32 v1, vcc_lo, v1, v6
	v_add_co_ci_u32_e64 v2, null, 0, v2, vcc_lo
	ds_bpermute_b32 v6, v4, v1
	v_add_co_u32 v1, vcc_lo, 0, v1
	s_waitcnt lgkmcnt(1)
	v_add_co_ci_u32_e64 v2, null, v5, v2, vcc_lo
	ds_bpermute_b32 v4, v4, v2
	s_waitcnt lgkmcnt(1)
	v_add_co_u32 v1, vcc_lo, v1, v6
	v_add_co_ci_u32_e64 v2, null, 0, v2, vcc_lo
	ds_bpermute_b32 v5, v3, v1
	v_add_co_u32 v1, vcc_lo, v1, 0
	s_waitcnt lgkmcnt(1)
	v_add_co_ci_u32_e64 v2, null, v2, v4, vcc_lo
	ds_bpermute_b32 v3, v3, v2
	s_waitcnt lgkmcnt(1)
	v_add_co_u32 v1, vcc_lo, v1, v5
	v_add_co_ci_u32_e64 v2, null, 0, v2, vcc_lo
	v_add_co_u32 v1, vcc_lo, v1, 0
	s_waitcnt lgkmcnt(0)
	v_add_co_ci_u32_e64 v2, null, v2, v3, vcc_lo
.LBB37_124:
	s_or_b32 exec_lo, exec_lo, s1
	s_branch .LBB37_155
.LBB37_125:
                                        ; implicit-def: $vgpr1_vgpr2
	s_cbranch_execz .LBB37_155
; %bb.126:
	v_mov_b32_e32 v1, 0
	s_sub_i32 s4, s18, s0
	s_mov_b32 s0, exec_lo
	v_mov_b32_e32 v2, v1
	v_mov_b32_e32 v3, v1
	v_mov_b32_e32 v4, v1
	v_mov_b32_e32 v5, v1
	v_mov_b32_e32 v6, v1
	v_mov_b32_e32 v7, v1
	v_mov_b32_e32 v8, v1
	v_cmpx_gt_u32_e64 s4, v0
	s_cbranch_execz .LBB37_128
; %bb.127:
	v_lshlrev_b32_e32 v2, 3, v0
	v_mov_b32_e32 v9, v1
	v_mov_b32_e32 v4, v1
	;; [unrolled: 1-line block ×4, first 2 shown]
	global_load_dwordx2 v[2:3], v2, s[2:3]
	v_mov_b32_e32 v7, v1
	v_mov_b32_e32 v8, v1
	s_waitcnt vmcnt(0)
	v_mov_b32_e32 v1, v2
	v_mov_b32_e32 v2, v3
	;; [unrolled: 1-line block ×8, first 2 shown]
.LBB37_128:
	s_or_b32 exec_lo, exec_lo, s0
	v_or_b32_e32 v9, 0x100, v0
	v_cmp_gt_u32_e32 vcc_lo, s4, v9
	s_and_saveexec_b32 s0, vcc_lo
	s_cbranch_execz .LBB37_130
; %bb.129:
	v_lshlrev_b32_e32 v3, 3, v9
	global_load_dwordx2 v[3:4], v3, s[2:3]
.LBB37_130:
	s_or_b32 exec_lo, exec_lo, s0
	v_or_b32_e32 v9, 0x200, v0
	v_cmp_gt_u32_e64 s0, s4, v9
	s_and_saveexec_b32 s1, s0
	s_cbranch_execz .LBB37_132
; %bb.131:
	v_lshlrev_b32_e32 v5, 3, v9
	global_load_dwordx2 v[5:6], v5, s[2:3]
.LBB37_132:
	s_or_b32 exec_lo, exec_lo, s1
	v_or_b32_e32 v9, 0x300, v0
	v_cmp_gt_u32_e64 s1, s4, v9
	s_and_saveexec_b32 s5, s1
	s_cbranch_execz .LBB37_134
; %bb.133:
	v_lshlrev_b32_e32 v7, 3, v9
	global_load_dwordx2 v[7:8], v7, s[2:3]
.LBB37_134:
	s_or_b32 exec_lo, exec_lo, s5
	s_waitcnt vmcnt(0)
	v_cndmask_b32_e32 v9, 0, v3, vcc_lo
	v_cndmask_b32_e32 v4, 0, v4, vcc_lo
	v_mbcnt_lo_u32_b32 v3, -1, 0
	v_cndmask_b32_e64 v5, 0, v5, s0
	v_add_co_u32 v1, vcc_lo, v9, v1
	v_add_co_ci_u32_e64 v2, null, v4, v2, vcc_lo
	v_cmp_ne_u32_e32 vcc_lo, 31, v3
	v_cndmask_b32_e64 v4, 0, v6, s0
	v_cndmask_b32_e64 v6, 0, v7, s1
	s_min_u32 s0, s4, 0x100
	v_add_co_ci_u32_e64 v7, null, 0, v3, vcc_lo
	v_add_co_u32 v1, vcc_lo, v1, v5
	v_add_co_ci_u32_e64 v2, null, v2, v4, vcc_lo
	v_cndmask_b32_e64 v4, 0, v8, s1
	v_add_co_u32 v1, vcc_lo, v1, v6
	v_lshlrev_b32_e32 v5, 2, v7
	v_add_nc_u32_e32 v6, 1, v3
	v_add_co_ci_u32_e64 v2, null, v2, v4, vcc_lo
	v_and_b32_e32 v4, 0xe0, v0
	ds_bpermute_b32 v7, v5, v1
	ds_bpermute_b32 v5, v5, v2
	v_sub_nc_u32_e64 v4, s0, v4 clamp
	v_cmp_lt_u32_e32 vcc_lo, v6, v4
	v_mov_b32_e32 v6, v1
	s_and_saveexec_b32 s1, vcc_lo
	s_cbranch_execz .LBB37_136
; %bb.135:
	s_waitcnt lgkmcnt(1)
	v_add_co_u32 v6, vcc_lo, v1, v7
	v_add_co_ci_u32_e64 v2, null, 0, v2, vcc_lo
	v_add_co_u32 v1, vcc_lo, v6, 0
	s_waitcnt lgkmcnt(0)
	v_add_co_ci_u32_e64 v2, null, v2, v5, vcc_lo
.LBB37_136:
	s_or_b32 exec_lo, exec_lo, s1
	v_cmp_gt_u32_e32 vcc_lo, 30, v3
	v_add_nc_u32_e32 v8, 2, v3
	s_mov_b32 s1, exec_lo
	s_waitcnt lgkmcnt(0)
	v_cndmask_b32_e64 v5, 0, 2, vcc_lo
	v_add_lshl_u32 v5, v5, v3, 2
	ds_bpermute_b32 v7, v5, v6
	ds_bpermute_b32 v5, v5, v2
	v_cmpx_lt_u32_e64 v8, v4
	s_cbranch_execz .LBB37_138
; %bb.137:
	s_waitcnt lgkmcnt(1)
	v_add_co_u32 v6, vcc_lo, v1, v7
	v_add_co_ci_u32_e64 v2, null, 0, v2, vcc_lo
	v_add_co_u32 v1, vcc_lo, 0, v6
	s_waitcnt lgkmcnt(0)
	v_add_co_ci_u32_e64 v2, null, v5, v2, vcc_lo
.LBB37_138:
	s_or_b32 exec_lo, exec_lo, s1
	v_cmp_gt_u32_e32 vcc_lo, 28, v3
	v_add_nc_u32_e32 v8, 4, v3
	s_mov_b32 s1, exec_lo
	s_waitcnt lgkmcnt(0)
	v_cndmask_b32_e64 v5, 0, 4, vcc_lo
	v_add_lshl_u32 v5, v5, v3, 2
	ds_bpermute_b32 v7, v5, v6
	ds_bpermute_b32 v5, v5, v2
	v_cmpx_lt_u32_e64 v8, v4
	s_cbranch_execz .LBB37_140
; %bb.139:
	s_waitcnt lgkmcnt(1)
	v_add_co_u32 v6, vcc_lo, v1, v7
	v_add_co_ci_u32_e64 v2, null, 0, v2, vcc_lo
	v_add_co_u32 v1, vcc_lo, 0, v6
	s_waitcnt lgkmcnt(0)
	v_add_co_ci_u32_e64 v2, null, v5, v2, vcc_lo
.LBB37_140:
	s_or_b32 exec_lo, exec_lo, s1
	v_cmp_gt_u32_e32 vcc_lo, 24, v3
	v_add_nc_u32_e32 v8, 8, v3
	s_mov_b32 s1, exec_lo
	s_waitcnt lgkmcnt(0)
	v_cndmask_b32_e64 v5, 0, 8, vcc_lo
	v_add_lshl_u32 v5, v5, v3, 2
	ds_bpermute_b32 v7, v5, v6
	ds_bpermute_b32 v5, v5, v2
	v_cmpx_lt_u32_e64 v8, v4
	s_cbranch_execz .LBB37_142
; %bb.141:
	s_waitcnt lgkmcnt(1)
	v_add_co_u32 v6, vcc_lo, v1, v7
	v_add_co_ci_u32_e64 v2, null, 0, v2, vcc_lo
	v_add_co_u32 v1, vcc_lo, 0, v6
	s_waitcnt lgkmcnt(0)
	v_add_co_ci_u32_e64 v2, null, v5, v2, vcc_lo
.LBB37_142:
	s_or_b32 exec_lo, exec_lo, s1
	s_waitcnt lgkmcnt(0)
	v_lshlrev_b32_e32 v5, 2, v3
	s_mov_b32 s1, exec_lo
	v_or_b32_e32 v8, 64, v5
	ds_bpermute_b32 v7, v8, v6
	ds_bpermute_b32 v6, v8, v2
	v_add_nc_u32_e32 v8, 16, v3
	v_cmpx_lt_u32_e64 v8, v4
	s_cbranch_execz .LBB37_144
; %bb.143:
	s_waitcnt lgkmcnt(1)
	v_add_co_u32 v1, vcc_lo, v1, v7
	v_add_co_ci_u32_e64 v2, null, 0, v2, vcc_lo
	v_add_co_u32 v1, vcc_lo, v1, 0
	s_waitcnt lgkmcnt(0)
	v_add_co_ci_u32_e64 v2, null, v2, v6, vcc_lo
.LBB37_144:
	s_or_b32 exec_lo, exec_lo, s1
	s_mov_b32 s1, exec_lo
	v_cmpx_eq_u32_e32 0, v3
; %bb.145:
	v_lshrrev_b32_e32 v4, 2, v0
	v_and_b32_e32 v4, 56, v4
	ds_write_b64 v4, v[1:2] offset:320
; %bb.146:
	s_or_b32 exec_lo, exec_lo, s1
	s_mov_b32 s1, exec_lo
	s_waitcnt lgkmcnt(0)
	s_barrier
	buffer_gl0_inv
	v_cmpx_gt_u32_e32 8, v0
	s_cbranch_execz .LBB37_154
; %bb.147:
	v_lshlrev_b32_e32 v1, 3, v3
	v_and_b32_e32 v4, 7, v3
	s_add_i32 s0, s0, 31
	s_lshr_b32 s0, s0, 5
	ds_read_b64 v[1:2], v1 offset:320
	v_cmp_ne_u32_e32 vcc_lo, 7, v4
	v_add_co_ci_u32_e64 v6, null, 0, v3, vcc_lo
	v_lshlrev_b32_e32 v6, 2, v6
	s_waitcnt lgkmcnt(0)
	ds_bpermute_b32 v8, v6, v1
	ds_bpermute_b32 v7, v6, v2
	v_add_nc_u32_e32 v6, 1, v4
	v_cmp_gt_u32_e32 vcc_lo, s0, v6
	v_mov_b32_e32 v6, v1
	s_and_saveexec_b32 s2, vcc_lo
	s_cbranch_execz .LBB37_149
; %bb.148:
	s_waitcnt lgkmcnt(1)
	v_add_co_u32 v6, vcc_lo, v1, v8
	v_add_co_ci_u32_e64 v2, null, 0, v2, vcc_lo
	v_add_co_u32 v1, vcc_lo, 0, v6
	s_waitcnt lgkmcnt(0)
	v_add_co_ci_u32_e64 v2, null, v7, v2, vcc_lo
.LBB37_149:
	s_or_b32 exec_lo, exec_lo, s2
	v_cmp_gt_u32_e32 vcc_lo, 6, v4
	s_waitcnt lgkmcnt(1)
	v_add_nc_u32_e32 v8, 2, v4
	s_mov_b32 s2, exec_lo
	s_waitcnt lgkmcnt(0)
	v_cndmask_b32_e64 v7, 0, 2, vcc_lo
	v_add_lshl_u32 v3, v7, v3, 2
	ds_bpermute_b32 v7, v3, v6
	ds_bpermute_b32 v3, v3, v2
	v_cmpx_gt_u32_e64 s0, v8
	s_cbranch_execz .LBB37_151
; %bb.150:
	s_waitcnt lgkmcnt(1)
	v_add_co_u32 v6, vcc_lo, v1, v7
	v_add_co_ci_u32_e64 v2, null, 0, v2, vcc_lo
	v_add_co_u32 v1, vcc_lo, 0, v6
	s_waitcnt lgkmcnt(0)
	v_add_co_ci_u32_e64 v2, null, v3, v2, vcc_lo
.LBB37_151:
	s_or_b32 exec_lo, exec_lo, s2
	s_waitcnt lgkmcnt(0)
	v_or_b32_e32 v3, 16, v5
	v_add_nc_u32_e32 v4, 4, v4
	ds_bpermute_b32 v5, v3, v6
	ds_bpermute_b32 v3, v3, v2
	v_cmp_gt_u32_e32 vcc_lo, s0, v4
	s_and_saveexec_b32 s0, vcc_lo
	s_cbranch_execz .LBB37_153
; %bb.152:
	s_waitcnt lgkmcnt(1)
	v_add_co_u32 v1, vcc_lo, v1, v5
	v_add_co_ci_u32_e64 v2, null, 0, v2, vcc_lo
	v_add_co_u32 v1, vcc_lo, v1, 0
	s_waitcnt lgkmcnt(0)
	v_add_co_ci_u32_e64 v2, null, v2, v3, vcc_lo
.LBB37_153:
	s_or_b32 exec_lo, exec_lo, s0
.LBB37_154:
	s_or_b32 exec_lo, exec_lo, s1
.LBB37_155:
	s_waitcnt lgkmcnt(0)
	v_mov_b32_e32 v3, s6
	v_cmp_eq_u32_e64 s0, 0, v0
	v_mov_b32_e32 v4, s7
.LBB37_156:
	s_branch .LBB37_226
.LBB37_157:
	s_cmp_gt_i32 s26, 1
	s_cbranch_scc0 .LBB37_165
; %bb.158:
	s_cmp_eq_u32 s26, 2
                                        ; implicit-def: $vgpr1_vgpr2
                                        ; implicit-def: $vgpr3_vgpr4
	s_cbranch_scc0 .LBB37_166
; %bb.159:
	s_mov_b32 s7, 0
	s_lshl_b32 s2, s6, 9
	s_mov_b32 s3, s7
	s_lshr_b64 s[4:5], s[18:19], 9
	s_lshl_b64 s[0:1], s[2:3], 3
	s_add_u32 s0, s16, s0
	s_addc_u32 s1, s17, s1
	s_cmp_lg_u64 s[4:5], s[6:7]
	s_cbranch_scc0 .LBB37_167
; %bb.160:
	v_lshlrev_b32_e32 v3, 3, v0
	v_add_co_u32 v1, s3, s0, v3
	v_add_co_ci_u32_e64 v2, null, s1, 0, s3
	s_mov_b32 s3, exec_lo
	v_add_co_u32 v1, vcc_lo, 0x800, v1
	v_add_co_ci_u32_e64 v2, null, 0, v2, vcc_lo
	s_clause 0x1
	global_load_dwordx2 v[3:4], v3, s[0:1]
	global_load_dwordx2 v[1:2], v[1:2], off
	s_waitcnt vmcnt(0)
	v_add_co_u32 v1, vcc_lo, v1, v3
	v_add_co_ci_u32_e64 v2, null, v2, v4, vcc_lo
	v_mov_b32_dpp v3, v1 quad_perm:[1,0,3,2] row_mask:0xf bank_mask:0xf
	v_add_co_u32 v1, vcc_lo, v1, v3
	v_mov_b32_dpp v3, v2 quad_perm:[1,0,3,2] row_mask:0xf bank_mask:0xf
	v_add_co_ci_u32_e64 v2, null, 0, v2, vcc_lo
	v_mov_b32_dpp v4, v1 quad_perm:[2,3,0,1] row_mask:0xf bank_mask:0xf
	v_add_co_u32 v1, vcc_lo, 0, v1
	v_add_co_ci_u32_e64 v2, null, v3, v2, vcc_lo
	v_add_co_u32 v1, vcc_lo, v1, v4
	v_mov_b32_dpp v3, v2 quad_perm:[2,3,0,1] row_mask:0xf bank_mask:0xf
	v_add_co_ci_u32_e64 v2, null, 0, v2, vcc_lo
	v_mov_b32_dpp v4, v1 row_ror:4 row_mask:0xf bank_mask:0xf
	v_add_co_u32 v1, vcc_lo, v1, 0
	v_add_co_ci_u32_e64 v2, null, v2, v3, vcc_lo
	v_add_co_u32 v1, vcc_lo, v1, v4
	v_mov_b32_dpp v3, v2 row_ror:4 row_mask:0xf bank_mask:0xf
	v_add_co_ci_u32_e64 v2, null, 0, v2, vcc_lo
	v_mov_b32_dpp v4, v1 row_ror:8 row_mask:0xf bank_mask:0xf
	v_add_co_u32 v1, vcc_lo, v1, 0
	v_add_co_ci_u32_e64 v2, null, v2, v3, vcc_lo
	v_add_co_u32 v1, vcc_lo, v1, v4
	v_mov_b32_dpp v3, v2 row_ror:8 row_mask:0xf bank_mask:0xf
	v_add_co_ci_u32_e64 v2, null, 0, v2, vcc_lo
	ds_swizzle_b32 v4, v1 offset:swizzle(BROADCAST,32,15)
	v_add_co_u32 v1, vcc_lo, v1, 0
	v_add_co_ci_u32_e64 v2, null, v2, v3, vcc_lo
	ds_swizzle_b32 v3, v2 offset:swizzle(BROADCAST,32,15)
	s_waitcnt lgkmcnt(1)
	v_add_co_u32 v1, vcc_lo, v1, v4
	v_add_co_ci_u32_e64 v2, null, 0, v2, vcc_lo
	v_mov_b32_e32 v4, 0
	s_waitcnt lgkmcnt(0)
	v_add_nc_u32_e32 v2, v3, v2
	ds_bpermute_b32 v1, v4, v1 offset:124
	v_mbcnt_lo_u32_b32 v3, -1, 0
	ds_bpermute_b32 v2, v4, v2 offset:124
	v_cmpx_eq_u32_e32 0, v3
	s_cbranch_execz .LBB37_162
; %bb.161:
	v_lshrrev_b32_e32 v4, 2, v0
	v_and_b32_e32 v4, 56, v4
	s_waitcnt lgkmcnt(0)
	ds_write_b64 v4, v[1:2] offset:128
.LBB37_162:
	s_or_b32 exec_lo, exec_lo, s3
	s_mov_b32 s3, exec_lo
	s_waitcnt lgkmcnt(0)
	s_barrier
	buffer_gl0_inv
	v_cmpx_gt_u32_e32 32, v0
	s_cbranch_execz .LBB37_164
; %bb.163:
	v_and_b32_e32 v4, 7, v3
	v_lshlrev_b32_e32 v1, 3, v4
	v_cmp_ne_u32_e32 vcc_lo, 7, v4
	ds_read_b64 v[1:2], v1 offset:128
	v_add_co_ci_u32_e64 v5, null, 0, v3, vcc_lo
	v_cmp_gt_u32_e32 vcc_lo, 6, v4
	v_lshlrev_b32_e32 v5, 2, v5
	v_cndmask_b32_e64 v4, 0, 2, vcc_lo
	v_add_lshl_u32 v4, v4, v3, 2
	v_lshlrev_b32_e32 v3, 2, v3
	v_or_b32_e32 v3, 16, v3
	s_waitcnt lgkmcnt(0)
	ds_bpermute_b32 v6, v5, v1
	ds_bpermute_b32 v5, v5, v2
	s_waitcnt lgkmcnt(1)
	v_add_co_u32 v1, vcc_lo, v1, v6
	v_add_co_ci_u32_e64 v2, null, 0, v2, vcc_lo
	ds_bpermute_b32 v6, v4, v1
	v_add_co_u32 v1, vcc_lo, 0, v1
	s_waitcnt lgkmcnt(1)
	v_add_co_ci_u32_e64 v2, null, v5, v2, vcc_lo
	ds_bpermute_b32 v4, v4, v2
	s_waitcnt lgkmcnt(1)
	v_add_co_u32 v1, vcc_lo, v1, v6
	v_add_co_ci_u32_e64 v2, null, 0, v2, vcc_lo
	ds_bpermute_b32 v5, v3, v1
	v_add_co_u32 v1, vcc_lo, v1, 0
	s_waitcnt lgkmcnt(1)
	v_add_co_ci_u32_e64 v2, null, v2, v4, vcc_lo
	ds_bpermute_b32 v3, v3, v2
	s_waitcnt lgkmcnt(1)
	v_add_co_u32 v1, vcc_lo, v1, v5
	v_add_co_ci_u32_e64 v2, null, 0, v2, vcc_lo
	v_add_co_u32 v1, vcc_lo, v1, 0
	s_waitcnt lgkmcnt(0)
	v_add_co_ci_u32_e64 v2, null, v2, v3, vcc_lo
.LBB37_164:
	s_or_b32 exec_lo, exec_lo, s3
	s_branch .LBB37_193
.LBB37_165:
                                        ; implicit-def: $vgpr1_vgpr2
                                        ; implicit-def: $vgpr3_vgpr4
	s_cbranch_execnz .LBB37_194
	s_branch .LBB37_226
.LBB37_166:
	s_branch .LBB37_226
.LBB37_167:
                                        ; implicit-def: $vgpr1_vgpr2
	s_cbranch_execz .LBB37_193
; %bb.168:
	v_mov_b32_e32 v1, 0
	s_sub_i32 s2, s18, s2
	s_mov_b32 s3, exec_lo
	v_mov_b32_e32 v2, v1
	v_mov_b32_e32 v3, v1
	v_mov_b32_e32 v4, v1
	v_cmpx_gt_u32_e64 s2, v0
	s_cbranch_execz .LBB37_170
; %bb.169:
	v_lshlrev_b32_e32 v2, 3, v0
	v_mov_b32_e32 v5, v1
	v_mov_b32_e32 v4, v1
	global_load_dwordx2 v[2:3], v2, s[0:1]
	s_waitcnt vmcnt(0)
	v_mov_b32_e32 v1, v2
	v_mov_b32_e32 v2, v3
	;; [unrolled: 1-line block ×4, first 2 shown]
.LBB37_170:
	s_or_b32 exec_lo, exec_lo, s3
	v_or_b32_e32 v5, 0x100, v0
	v_cmp_gt_u32_e32 vcc_lo, s2, v5
	s_and_saveexec_b32 s3, vcc_lo
	s_cbranch_execz .LBB37_172
; %bb.171:
	v_lshlrev_b32_e32 v3, 3, v5
	global_load_dwordx2 v[3:4], v3, s[0:1]
.LBB37_172:
	s_or_b32 exec_lo, exec_lo, s3
	v_mbcnt_lo_u32_b32 v5, -1, 0
	s_waitcnt vmcnt(0)
	v_cndmask_b32_e32 v3, 0, v3, vcc_lo
	v_cndmask_b32_e32 v4, 0, v4, vcc_lo
	v_cmp_ne_u32_e64 s0, 31, v5
	v_add_co_u32 v1, vcc_lo, v3, v1
	v_add_co_ci_u32_e64 v2, null, v4, v2, vcc_lo
	v_add_co_ci_u32_e64 v6, null, 0, v5, s0
	v_and_b32_e32 v3, 0xe0, v0
	s_min_u32 s0, s2, 0x100
	v_lshlrev_b32_e32 v6, 2, v6
	v_sub_nc_u32_e64 v3, s0, v3 clamp
	ds_bpermute_b32 v7, v6, v1
	ds_bpermute_b32 v4, v6, v2
	v_add_nc_u32_e32 v6, 1, v5
	v_cmp_lt_u32_e32 vcc_lo, v6, v3
	v_mov_b32_e32 v6, v1
	s_and_saveexec_b32 s1, vcc_lo
	s_cbranch_execz .LBB37_174
; %bb.173:
	s_waitcnt lgkmcnt(1)
	v_add_co_u32 v6, vcc_lo, v1, v7
	v_add_co_ci_u32_e64 v2, null, 0, v2, vcc_lo
	v_add_co_u32 v1, vcc_lo, 0, v6
	s_waitcnt lgkmcnt(0)
	v_add_co_ci_u32_e64 v2, null, v4, v2, vcc_lo
.LBB37_174:
	s_or_b32 exec_lo, exec_lo, s1
	v_cmp_gt_u32_e32 vcc_lo, 30, v5
	v_add_nc_u32_e32 v8, 2, v5
	s_mov_b32 s1, exec_lo
	s_waitcnt lgkmcnt(0)
	v_cndmask_b32_e64 v4, 0, 2, vcc_lo
	v_add_lshl_u32 v4, v4, v5, 2
	ds_bpermute_b32 v7, v4, v6
	ds_bpermute_b32 v4, v4, v2
	v_cmpx_lt_u32_e64 v8, v3
	s_cbranch_execz .LBB37_176
; %bb.175:
	s_waitcnt lgkmcnt(1)
	v_add_co_u32 v6, vcc_lo, v1, v7
	v_add_co_ci_u32_e64 v2, null, 0, v2, vcc_lo
	v_add_co_u32 v1, vcc_lo, 0, v6
	s_waitcnt lgkmcnt(0)
	v_add_co_ci_u32_e64 v2, null, v4, v2, vcc_lo
.LBB37_176:
	s_or_b32 exec_lo, exec_lo, s1
	v_cmp_gt_u32_e32 vcc_lo, 28, v5
	v_add_nc_u32_e32 v8, 4, v5
	s_mov_b32 s1, exec_lo
	s_waitcnt lgkmcnt(0)
	v_cndmask_b32_e64 v4, 0, 4, vcc_lo
	v_add_lshl_u32 v4, v4, v5, 2
	ds_bpermute_b32 v7, v4, v6
	ds_bpermute_b32 v4, v4, v2
	v_cmpx_lt_u32_e64 v8, v3
	s_cbranch_execz .LBB37_178
; %bb.177:
	s_waitcnt lgkmcnt(1)
	v_add_co_u32 v6, vcc_lo, v1, v7
	v_add_co_ci_u32_e64 v2, null, 0, v2, vcc_lo
	v_add_co_u32 v1, vcc_lo, 0, v6
	s_waitcnt lgkmcnt(0)
	v_add_co_ci_u32_e64 v2, null, v4, v2, vcc_lo
.LBB37_178:
	s_or_b32 exec_lo, exec_lo, s1
	v_cmp_gt_u32_e32 vcc_lo, 24, v5
	v_add_nc_u32_e32 v8, 8, v5
	s_mov_b32 s1, exec_lo
	s_waitcnt lgkmcnt(0)
	v_cndmask_b32_e64 v4, 0, 8, vcc_lo
	v_add_lshl_u32 v4, v4, v5, 2
	ds_bpermute_b32 v7, v4, v6
	ds_bpermute_b32 v4, v4, v2
	v_cmpx_lt_u32_e64 v8, v3
	s_cbranch_execz .LBB37_180
; %bb.179:
	s_waitcnt lgkmcnt(1)
	v_add_co_u32 v6, vcc_lo, v1, v7
	v_add_co_ci_u32_e64 v2, null, 0, v2, vcc_lo
	v_add_co_u32 v1, vcc_lo, 0, v6
	s_waitcnt lgkmcnt(0)
	v_add_co_ci_u32_e64 v2, null, v4, v2, vcc_lo
.LBB37_180:
	s_or_b32 exec_lo, exec_lo, s1
	s_waitcnt lgkmcnt(0)
	v_lshlrev_b32_e32 v4, 2, v5
	s_mov_b32 s1, exec_lo
	v_or_b32_e32 v8, 64, v4
	ds_bpermute_b32 v7, v8, v6
	ds_bpermute_b32 v6, v8, v2
	v_add_nc_u32_e32 v8, 16, v5
	v_cmpx_lt_u32_e64 v8, v3
	s_cbranch_execz .LBB37_182
; %bb.181:
	s_waitcnt lgkmcnt(1)
	v_add_co_u32 v1, vcc_lo, v1, v7
	v_add_co_ci_u32_e64 v2, null, 0, v2, vcc_lo
	v_add_co_u32 v1, vcc_lo, v1, 0
	s_waitcnt lgkmcnt(0)
	v_add_co_ci_u32_e64 v2, null, v2, v6, vcc_lo
.LBB37_182:
	s_or_b32 exec_lo, exec_lo, s1
	s_mov_b32 s1, exec_lo
	v_cmpx_eq_u32_e32 0, v5
; %bb.183:
	v_lshrrev_b32_e32 v3, 2, v0
	v_and_b32_e32 v3, 56, v3
	ds_write_b64 v3, v[1:2] offset:320
; %bb.184:
	s_or_b32 exec_lo, exec_lo, s1
	s_mov_b32 s1, exec_lo
	s_waitcnt lgkmcnt(0)
	s_barrier
	buffer_gl0_inv
	v_cmpx_gt_u32_e32 8, v0
	s_cbranch_execz .LBB37_192
; %bb.185:
	v_lshlrev_b32_e32 v1, 3, v5
	v_and_b32_e32 v3, 7, v5
	s_add_i32 s0, s0, 31
	s_lshr_b32 s0, s0, 5
	ds_read_b64 v[1:2], v1 offset:320
	v_cmp_ne_u32_e32 vcc_lo, 7, v3
	v_add_co_ci_u32_e64 v6, null, 0, v5, vcc_lo
	v_lshlrev_b32_e32 v6, 2, v6
	s_waitcnt lgkmcnt(0)
	ds_bpermute_b32 v8, v6, v1
	ds_bpermute_b32 v7, v6, v2
	v_add_nc_u32_e32 v6, 1, v3
	v_cmp_gt_u32_e32 vcc_lo, s0, v6
	v_mov_b32_e32 v6, v1
	s_and_saveexec_b32 s2, vcc_lo
	s_cbranch_execz .LBB37_187
; %bb.186:
	s_waitcnt lgkmcnt(1)
	v_add_co_u32 v6, vcc_lo, v1, v8
	v_add_co_ci_u32_e64 v2, null, 0, v2, vcc_lo
	v_add_co_u32 v1, vcc_lo, 0, v6
	s_waitcnt lgkmcnt(0)
	v_add_co_ci_u32_e64 v2, null, v7, v2, vcc_lo
.LBB37_187:
	s_or_b32 exec_lo, exec_lo, s2
	v_cmp_gt_u32_e32 vcc_lo, 6, v3
	s_waitcnt lgkmcnt(1)
	v_add_nc_u32_e32 v8, 2, v3
	s_mov_b32 s2, exec_lo
	s_waitcnt lgkmcnt(0)
	v_cndmask_b32_e64 v7, 0, 2, vcc_lo
	v_add_lshl_u32 v5, v7, v5, 2
	ds_bpermute_b32 v7, v5, v6
	ds_bpermute_b32 v5, v5, v2
	v_cmpx_gt_u32_e64 s0, v8
	s_cbranch_execz .LBB37_189
; %bb.188:
	s_waitcnt lgkmcnt(1)
	v_add_co_u32 v6, vcc_lo, v1, v7
	v_add_co_ci_u32_e64 v2, null, 0, v2, vcc_lo
	v_add_co_u32 v1, vcc_lo, 0, v6
	s_waitcnt lgkmcnt(0)
	v_add_co_ci_u32_e64 v2, null, v5, v2, vcc_lo
.LBB37_189:
	s_or_b32 exec_lo, exec_lo, s2
	v_or_b32_e32 v4, 16, v4
	v_add_nc_u32_e32 v3, 4, v3
	s_waitcnt lgkmcnt(0)
	ds_bpermute_b32 v5, v4, v6
	ds_bpermute_b32 v4, v4, v2
	v_cmp_gt_u32_e32 vcc_lo, s0, v3
	s_and_saveexec_b32 s0, vcc_lo
	s_cbranch_execz .LBB37_191
; %bb.190:
	s_waitcnt lgkmcnt(1)
	v_add_co_u32 v1, vcc_lo, v1, v5
	v_add_co_ci_u32_e64 v2, null, 0, v2, vcc_lo
	v_add_co_u32 v1, vcc_lo, v1, 0
	s_waitcnt lgkmcnt(0)
	v_add_co_ci_u32_e64 v2, null, v2, v4, vcc_lo
.LBB37_191:
	s_or_b32 exec_lo, exec_lo, s0
.LBB37_192:
	s_or_b32 exec_lo, exec_lo, s1
.LBB37_193:
	s_waitcnt lgkmcnt(0)
	v_mov_b32_e32 v3, s6
	v_cmp_eq_u32_e64 s0, 0, v0
	v_mov_b32_e32 v4, s7
	s_branch .LBB37_226
.LBB37_194:
	s_cmp_eq_u32 s26, 1
                                        ; implicit-def: $vgpr1_vgpr2
                                        ; implicit-def: $vgpr3_vgpr4
	s_cbranch_scc0 .LBB37_226
; %bb.195:
	s_mov_b32 s1, 0
	v_mbcnt_lo_u32_b32 v3, -1, 0
	s_lshr_b64 s[2:3], s[18:19], 8
	s_mov_b32 s7, s1
	s_lshl_b32 s0, s6, 8
	s_cmp_lg_u64 s[2:3], s[6:7]
	s_cbranch_scc0 .LBB37_201
; %bb.196:
	s_lshl_b64 s[2:3], s[0:1], 3
	v_lshlrev_b32_e32 v1, 3, v0
	s_add_u32 s2, s16, s2
	s_addc_u32 s3, s17, s3
	global_load_dwordx2 v[1:2], v1, s[2:3]
	s_mov_b32 s2, exec_lo
	s_waitcnt vmcnt(0)
	v_mov_b32_dpp v4, v1 quad_perm:[1,0,3,2] row_mask:0xf bank_mask:0xf
	v_add_co_u32 v1, vcc_lo, v1, v4
	v_mov_b32_dpp v4, v2 quad_perm:[1,0,3,2] row_mask:0xf bank_mask:0xf
	v_add_co_ci_u32_e64 v2, null, 0, v2, vcc_lo
	v_mov_b32_dpp v5, v1 quad_perm:[2,3,0,1] row_mask:0xf bank_mask:0xf
	v_add_co_u32 v1, vcc_lo, 0, v1
	v_add_co_ci_u32_e64 v2, null, v4, v2, vcc_lo
	v_add_co_u32 v1, vcc_lo, v1, v5
	v_mov_b32_dpp v4, v2 quad_perm:[2,3,0,1] row_mask:0xf bank_mask:0xf
	v_add_co_ci_u32_e64 v2, null, 0, v2, vcc_lo
	v_mov_b32_dpp v5, v1 row_ror:4 row_mask:0xf bank_mask:0xf
	v_add_co_u32 v1, vcc_lo, v1, 0
	v_add_co_ci_u32_e64 v2, null, v2, v4, vcc_lo
	v_add_co_u32 v1, vcc_lo, v1, v5
	v_mov_b32_dpp v4, v2 row_ror:4 row_mask:0xf bank_mask:0xf
	v_add_co_ci_u32_e64 v2, null, 0, v2, vcc_lo
	v_mov_b32_dpp v5, v1 row_ror:8 row_mask:0xf bank_mask:0xf
	v_add_co_u32 v1, vcc_lo, v1, 0
	v_add_co_ci_u32_e64 v2, null, v2, v4, vcc_lo
	v_add_co_u32 v1, vcc_lo, v1, v5
	v_mov_b32_dpp v4, v2 row_ror:8 row_mask:0xf bank_mask:0xf
	v_add_co_ci_u32_e64 v2, null, 0, v2, vcc_lo
	ds_swizzle_b32 v5, v1 offset:swizzle(BROADCAST,32,15)
	v_add_co_u32 v1, vcc_lo, v1, 0
	v_add_co_ci_u32_e64 v2, null, v2, v4, vcc_lo
	ds_swizzle_b32 v4, v2 offset:swizzle(BROADCAST,32,15)
	s_waitcnt lgkmcnt(1)
	v_add_co_u32 v1, vcc_lo, v1, v5
	v_add_co_ci_u32_e64 v2, null, 0, v2, vcc_lo
	v_mov_b32_e32 v5, 0
	s_waitcnt lgkmcnt(0)
	v_add_nc_u32_e32 v2, v4, v2
	ds_bpermute_b32 v1, v5, v1 offset:124
	ds_bpermute_b32 v2, v5, v2 offset:124
	v_cmpx_eq_u32_e32 0, v3
	s_cbranch_execz .LBB37_198
; %bb.197:
	v_lshrrev_b32_e32 v4, 2, v0
	v_and_b32_e32 v4, 56, v4
	s_waitcnt lgkmcnt(0)
	ds_write_b64 v4, v[1:2] offset:64
.LBB37_198:
	s_or_b32 exec_lo, exec_lo, s2
	s_mov_b32 s2, exec_lo
	s_waitcnt lgkmcnt(0)
	s_barrier
	buffer_gl0_inv
	v_cmpx_gt_u32_e32 32, v0
	s_cbranch_execz .LBB37_200
; %bb.199:
	v_and_b32_e32 v4, 7, v3
	v_lshlrev_b32_e32 v1, 3, v4
	v_cmp_ne_u32_e32 vcc_lo, 7, v4
	ds_read_b64 v[1:2], v1 offset:64
	v_add_co_ci_u32_e64 v5, null, 0, v3, vcc_lo
	v_cmp_gt_u32_e32 vcc_lo, 6, v4
	v_lshlrev_b32_e32 v5, 2, v5
	v_cndmask_b32_e64 v4, 0, 2, vcc_lo
	v_add_lshl_u32 v4, v4, v3, 2
	s_waitcnt lgkmcnt(0)
	ds_bpermute_b32 v6, v5, v1
	ds_bpermute_b32 v5, v5, v2
	s_waitcnt lgkmcnt(1)
	v_add_co_u32 v1, vcc_lo, v1, v6
	v_add_co_ci_u32_e64 v2, null, 0, v2, vcc_lo
	ds_bpermute_b32 v6, v4, v1
	v_add_co_u32 v1, vcc_lo, 0, v1
	s_waitcnt lgkmcnt(1)
	v_add_co_ci_u32_e64 v2, null, v5, v2, vcc_lo
	v_lshlrev_b32_e32 v5, 2, v3
	ds_bpermute_b32 v4, v4, v2
	v_or_b32_e32 v5, 16, v5
	s_waitcnt lgkmcnt(1)
	v_add_co_u32 v1, vcc_lo, v1, v6
	v_add_co_ci_u32_e64 v2, null, 0, v2, vcc_lo
	ds_bpermute_b32 v6, v5, v1
	v_add_co_u32 v1, vcc_lo, v1, 0
	s_waitcnt lgkmcnt(1)
	v_add_co_ci_u32_e64 v2, null, v2, v4, vcc_lo
	ds_bpermute_b32 v4, v5, v2
	s_waitcnt lgkmcnt(1)
	v_add_co_u32 v1, vcc_lo, v1, v6
	v_add_co_ci_u32_e64 v2, null, 0, v2, vcc_lo
	v_add_co_u32 v1, vcc_lo, v1, 0
	s_waitcnt lgkmcnt(0)
	v_add_co_ci_u32_e64 v2, null, v2, v4, vcc_lo
.LBB37_200:
	s_or_b32 exec_lo, exec_lo, s2
	s_branch .LBB37_225
.LBB37_201:
                                        ; implicit-def: $vgpr1_vgpr2
	s_cbranch_execz .LBB37_225
; %bb.202:
	s_sub_i32 s2, s18, s0
	s_mov_b32 s3, exec_lo
                                        ; implicit-def: $vgpr1_vgpr2
	v_cmpx_gt_u32_e64 s2, v0
	s_cbranch_execz .LBB37_204
; %bb.203:
	s_lshl_b64 s[0:1], s[0:1], 3
	v_lshlrev_b32_e32 v1, 3, v0
	s_add_u32 s0, s16, s0
	s_addc_u32 s1, s17, s1
	global_load_dwordx2 v[1:2], v1, s[0:1]
.LBB37_204:
	s_or_b32 exec_lo, exec_lo, s3
	v_cmp_ne_u32_e32 vcc_lo, 31, v3
	s_min_u32 s0, s2, 0x100
	v_add_nc_u32_e32 v6, 1, v3
	v_add_co_ci_u32_e64 v4, null, 0, v3, vcc_lo
	v_lshlrev_b32_e32 v4, 2, v4
	s_waitcnt vmcnt(0)
	ds_bpermute_b32 v7, v4, v1
	ds_bpermute_b32 v5, v4, v2
	v_and_b32_e32 v4, 0xe0, v0
	v_sub_nc_u32_e64 v4, s0, v4 clamp
	v_cmp_lt_u32_e32 vcc_lo, v6, v4
	v_mov_b32_e32 v6, v1
	s_and_saveexec_b32 s1, vcc_lo
	s_cbranch_execz .LBB37_206
; %bb.205:
	s_waitcnt lgkmcnt(1)
	v_add_co_u32 v6, vcc_lo, v1, v7
	v_add_co_ci_u32_e64 v2, null, 0, v2, vcc_lo
	v_add_co_u32 v1, vcc_lo, 0, v6
	s_waitcnt lgkmcnt(0)
	v_add_co_ci_u32_e64 v2, null, v5, v2, vcc_lo
.LBB37_206:
	s_or_b32 exec_lo, exec_lo, s1
	v_cmp_gt_u32_e32 vcc_lo, 30, v3
	v_add_nc_u32_e32 v8, 2, v3
	s_mov_b32 s1, exec_lo
	s_waitcnt lgkmcnt(0)
	v_cndmask_b32_e64 v5, 0, 2, vcc_lo
	v_add_lshl_u32 v5, v5, v3, 2
	ds_bpermute_b32 v7, v5, v6
	ds_bpermute_b32 v5, v5, v2
	v_cmpx_lt_u32_e64 v8, v4
	s_cbranch_execz .LBB37_208
; %bb.207:
	s_waitcnt lgkmcnt(1)
	v_add_co_u32 v6, vcc_lo, v1, v7
	v_add_co_ci_u32_e64 v2, null, 0, v2, vcc_lo
	v_add_co_u32 v1, vcc_lo, 0, v6
	s_waitcnt lgkmcnt(0)
	v_add_co_ci_u32_e64 v2, null, v5, v2, vcc_lo
.LBB37_208:
	s_or_b32 exec_lo, exec_lo, s1
	v_cmp_gt_u32_e32 vcc_lo, 28, v3
	v_add_nc_u32_e32 v8, 4, v3
	s_mov_b32 s1, exec_lo
	s_waitcnt lgkmcnt(0)
	v_cndmask_b32_e64 v5, 0, 4, vcc_lo
	v_add_lshl_u32 v5, v5, v3, 2
	ds_bpermute_b32 v7, v5, v6
	ds_bpermute_b32 v5, v5, v2
	v_cmpx_lt_u32_e64 v8, v4
	s_cbranch_execz .LBB37_210
; %bb.209:
	s_waitcnt lgkmcnt(1)
	v_add_co_u32 v6, vcc_lo, v1, v7
	v_add_co_ci_u32_e64 v2, null, 0, v2, vcc_lo
	v_add_co_u32 v1, vcc_lo, 0, v6
	s_waitcnt lgkmcnt(0)
	v_add_co_ci_u32_e64 v2, null, v5, v2, vcc_lo
.LBB37_210:
	s_or_b32 exec_lo, exec_lo, s1
	v_cmp_gt_u32_e32 vcc_lo, 24, v3
	v_add_nc_u32_e32 v8, 8, v3
	s_mov_b32 s1, exec_lo
	s_waitcnt lgkmcnt(0)
	v_cndmask_b32_e64 v5, 0, 8, vcc_lo
	v_add_lshl_u32 v5, v5, v3, 2
	ds_bpermute_b32 v7, v5, v6
	ds_bpermute_b32 v5, v5, v2
	v_cmpx_lt_u32_e64 v8, v4
	s_cbranch_execz .LBB37_212
; %bb.211:
	s_waitcnt lgkmcnt(1)
	v_add_co_u32 v6, vcc_lo, v1, v7
	v_add_co_ci_u32_e64 v2, null, 0, v2, vcc_lo
	v_add_co_u32 v1, vcc_lo, 0, v6
	s_waitcnt lgkmcnt(0)
	v_add_co_ci_u32_e64 v2, null, v5, v2, vcc_lo
.LBB37_212:
	s_or_b32 exec_lo, exec_lo, s1
	s_waitcnt lgkmcnt(0)
	v_lshlrev_b32_e32 v5, 2, v3
	s_mov_b32 s1, exec_lo
	v_or_b32_e32 v8, 64, v5
	ds_bpermute_b32 v7, v8, v6
	ds_bpermute_b32 v6, v8, v2
	v_add_nc_u32_e32 v8, 16, v3
	v_cmpx_lt_u32_e64 v8, v4
	s_cbranch_execz .LBB37_214
; %bb.213:
	s_waitcnt lgkmcnt(1)
	v_add_co_u32 v1, vcc_lo, v1, v7
	v_add_co_ci_u32_e64 v2, null, 0, v2, vcc_lo
	v_add_co_u32 v1, vcc_lo, v1, 0
	s_waitcnt lgkmcnt(0)
	v_add_co_ci_u32_e64 v2, null, v2, v6, vcc_lo
.LBB37_214:
	s_or_b32 exec_lo, exec_lo, s1
	s_mov_b32 s1, exec_lo
	v_cmpx_eq_u32_e32 0, v3
; %bb.215:
	v_lshrrev_b32_e32 v4, 2, v0
	v_and_b32_e32 v4, 56, v4
	ds_write_b64 v4, v[1:2] offset:320
; %bb.216:
	s_or_b32 exec_lo, exec_lo, s1
	s_mov_b32 s1, exec_lo
	s_waitcnt lgkmcnt(0)
	s_barrier
	buffer_gl0_inv
	v_cmpx_gt_u32_e32 8, v0
	s_cbranch_execz .LBB37_224
; %bb.217:
	v_lshlrev_b32_e32 v1, 3, v3
	v_and_b32_e32 v4, 7, v3
	s_add_i32 s0, s0, 31
	s_lshr_b32 s0, s0, 5
	ds_read_b64 v[1:2], v1 offset:320
	v_cmp_ne_u32_e32 vcc_lo, 7, v4
	v_add_co_ci_u32_e64 v6, null, 0, v3, vcc_lo
	v_lshlrev_b32_e32 v6, 2, v6
	s_waitcnt lgkmcnt(0)
	ds_bpermute_b32 v8, v6, v1
	ds_bpermute_b32 v7, v6, v2
	v_add_nc_u32_e32 v6, 1, v4
	v_cmp_gt_u32_e32 vcc_lo, s0, v6
	v_mov_b32_e32 v6, v1
	s_and_saveexec_b32 s2, vcc_lo
	s_cbranch_execz .LBB37_219
; %bb.218:
	s_waitcnt lgkmcnt(1)
	v_add_co_u32 v6, vcc_lo, v1, v8
	v_add_co_ci_u32_e64 v2, null, 0, v2, vcc_lo
	v_add_co_u32 v1, vcc_lo, 0, v6
	s_waitcnt lgkmcnt(0)
	v_add_co_ci_u32_e64 v2, null, v7, v2, vcc_lo
.LBB37_219:
	s_or_b32 exec_lo, exec_lo, s2
	v_cmp_gt_u32_e32 vcc_lo, 6, v4
	s_waitcnt lgkmcnt(1)
	v_add_nc_u32_e32 v8, 2, v4
	s_mov_b32 s2, exec_lo
	s_waitcnt lgkmcnt(0)
	v_cndmask_b32_e64 v7, 0, 2, vcc_lo
	v_add_lshl_u32 v3, v7, v3, 2
	ds_bpermute_b32 v7, v3, v6
	ds_bpermute_b32 v3, v3, v2
	v_cmpx_gt_u32_e64 s0, v8
	s_cbranch_execz .LBB37_221
; %bb.220:
	s_waitcnt lgkmcnt(1)
	v_add_co_u32 v6, vcc_lo, v1, v7
	v_add_co_ci_u32_e64 v2, null, 0, v2, vcc_lo
	v_add_co_u32 v1, vcc_lo, 0, v6
	s_waitcnt lgkmcnt(0)
	v_add_co_ci_u32_e64 v2, null, v3, v2, vcc_lo
.LBB37_221:
	s_or_b32 exec_lo, exec_lo, s2
	s_waitcnt lgkmcnt(0)
	v_or_b32_e32 v3, 16, v5
	v_add_nc_u32_e32 v4, 4, v4
	ds_bpermute_b32 v5, v3, v6
	ds_bpermute_b32 v3, v3, v2
	v_cmp_gt_u32_e32 vcc_lo, s0, v4
	s_and_saveexec_b32 s0, vcc_lo
	s_cbranch_execz .LBB37_223
; %bb.222:
	s_waitcnt lgkmcnt(1)
	v_add_co_u32 v1, vcc_lo, v1, v5
	v_add_co_ci_u32_e64 v2, null, 0, v2, vcc_lo
	v_add_co_u32 v1, vcc_lo, v1, 0
	s_waitcnt lgkmcnt(0)
	v_add_co_ci_u32_e64 v2, null, v2, v3, vcc_lo
.LBB37_223:
	s_or_b32 exec_lo, exec_lo, s0
.LBB37_224:
	s_or_b32 exec_lo, exec_lo, s1
.LBB37_225:
	s_waitcnt lgkmcnt(0)
	v_mov_b32_e32 v3, s6
	v_cmp_eq_u32_e64 s0, 0, v0
	v_mov_b32_e32 v4, s7
.LBB37_226:
	s_and_saveexec_b32 s1, s0
	s_cbranch_execz .LBB37_228
; %bb.227:
	s_cmp_lg_u64 s[18:19], 0
	v_lshlrev_b64 v[3:4], 3, v[3:4]
	s_cselect_b32 vcc_lo, -1, 0
	v_cndmask_b32_e32 v5, 0, v2, vcc_lo
	v_cndmask_b32_e32 v2, 0, v1, vcc_lo
	v_add_co_u32 v0, vcc_lo, s20, v3
	v_add_co_ci_u32_e64 v1, null, s21, v4, vcc_lo
	v_add_co_u32 v2, vcc_lo, v2, s22
	v_add_co_ci_u32_e64 v3, null, s23, v5, vcc_lo
	global_store_dwordx2 v[0:1], v[2:3], off
.LBB37_228:
	s_endpgm
	.section	.rodata,"a",@progbits
	.p2align	6, 0x0
	.amdhsa_kernel _ZN7rocprim17ROCPRIM_400000_NS6detail17trampoline_kernelINS0_14default_configENS1_22reduce_config_selectorImEEZNS1_11reduce_implILb1ES3_PmS7_mN6thrust23THRUST_200600_302600_NS4plusImEEEE10hipError_tPvRmT1_T2_T3_mT4_P12ihipStream_tbEUlT_E1_NS1_11comp_targetILNS1_3genE8ELNS1_11target_archE1030ELNS1_3gpuE2ELNS1_3repE0EEENS1_30default_config_static_selectorELNS0_4arch9wavefront6targetE0EEEvSF_
		.amdhsa_group_segment_fixed_size 384
		.amdhsa_private_segment_fixed_size 0
		.amdhsa_kernarg_size 48
		.amdhsa_user_sgpr_count 6
		.amdhsa_user_sgpr_private_segment_buffer 1
		.amdhsa_user_sgpr_dispatch_ptr 0
		.amdhsa_user_sgpr_queue_ptr 0
		.amdhsa_user_sgpr_kernarg_segment_ptr 1
		.amdhsa_user_sgpr_dispatch_id 0
		.amdhsa_user_sgpr_flat_scratch_init 0
		.amdhsa_user_sgpr_private_segment_size 0
		.amdhsa_wavefront_size32 1
		.amdhsa_uses_dynamic_stack 0
		.amdhsa_system_sgpr_private_segment_wavefront_offset 0
		.amdhsa_system_sgpr_workgroup_id_x 1
		.amdhsa_system_sgpr_workgroup_id_y 0
		.amdhsa_system_sgpr_workgroup_id_z 0
		.amdhsa_system_sgpr_workgroup_info 0
		.amdhsa_system_vgpr_workitem_id 0
		.amdhsa_next_free_vgpr 34
		.amdhsa_next_free_sgpr 30
		.amdhsa_reserve_vcc 1
		.amdhsa_reserve_flat_scratch 0
		.amdhsa_float_round_mode_32 0
		.amdhsa_float_round_mode_16_64 0
		.amdhsa_float_denorm_mode_32 3
		.amdhsa_float_denorm_mode_16_64 3
		.amdhsa_dx10_clamp 1
		.amdhsa_ieee_mode 1
		.amdhsa_fp16_overflow 0
		.amdhsa_workgroup_processor_mode 1
		.amdhsa_memory_ordered 1
		.amdhsa_forward_progress 1
		.amdhsa_shared_vgpr_count 0
		.amdhsa_exception_fp_ieee_invalid_op 0
		.amdhsa_exception_fp_denorm_src 0
		.amdhsa_exception_fp_ieee_div_zero 0
		.amdhsa_exception_fp_ieee_overflow 0
		.amdhsa_exception_fp_ieee_underflow 0
		.amdhsa_exception_fp_ieee_inexact 0
		.amdhsa_exception_int_div_zero 0
	.end_amdhsa_kernel
	.section	.text._ZN7rocprim17ROCPRIM_400000_NS6detail17trampoline_kernelINS0_14default_configENS1_22reduce_config_selectorImEEZNS1_11reduce_implILb1ES3_PmS7_mN6thrust23THRUST_200600_302600_NS4plusImEEEE10hipError_tPvRmT1_T2_T3_mT4_P12ihipStream_tbEUlT_E1_NS1_11comp_targetILNS1_3genE8ELNS1_11target_archE1030ELNS1_3gpuE2ELNS1_3repE0EEENS1_30default_config_static_selectorELNS0_4arch9wavefront6targetE0EEEvSF_,"axG",@progbits,_ZN7rocprim17ROCPRIM_400000_NS6detail17trampoline_kernelINS0_14default_configENS1_22reduce_config_selectorImEEZNS1_11reduce_implILb1ES3_PmS7_mN6thrust23THRUST_200600_302600_NS4plusImEEEE10hipError_tPvRmT1_T2_T3_mT4_P12ihipStream_tbEUlT_E1_NS1_11comp_targetILNS1_3genE8ELNS1_11target_archE1030ELNS1_3gpuE2ELNS1_3repE0EEENS1_30default_config_static_selectorELNS0_4arch9wavefront6targetE0EEEvSF_,comdat
.Lfunc_end37:
	.size	_ZN7rocprim17ROCPRIM_400000_NS6detail17trampoline_kernelINS0_14default_configENS1_22reduce_config_selectorImEEZNS1_11reduce_implILb1ES3_PmS7_mN6thrust23THRUST_200600_302600_NS4plusImEEEE10hipError_tPvRmT1_T2_T3_mT4_P12ihipStream_tbEUlT_E1_NS1_11comp_targetILNS1_3genE8ELNS1_11target_archE1030ELNS1_3gpuE2ELNS1_3repE0EEENS1_30default_config_static_selectorELNS0_4arch9wavefront6targetE0EEEvSF_, .Lfunc_end37-_ZN7rocprim17ROCPRIM_400000_NS6detail17trampoline_kernelINS0_14default_configENS1_22reduce_config_selectorImEEZNS1_11reduce_implILb1ES3_PmS7_mN6thrust23THRUST_200600_302600_NS4plusImEEEE10hipError_tPvRmT1_T2_T3_mT4_P12ihipStream_tbEUlT_E1_NS1_11comp_targetILNS1_3genE8ELNS1_11target_archE1030ELNS1_3gpuE2ELNS1_3repE0EEENS1_30default_config_static_selectorELNS0_4arch9wavefront6targetE0EEEvSF_
                                        ; -- End function
	.set _ZN7rocprim17ROCPRIM_400000_NS6detail17trampoline_kernelINS0_14default_configENS1_22reduce_config_selectorImEEZNS1_11reduce_implILb1ES3_PmS7_mN6thrust23THRUST_200600_302600_NS4plusImEEEE10hipError_tPvRmT1_T2_T3_mT4_P12ihipStream_tbEUlT_E1_NS1_11comp_targetILNS1_3genE8ELNS1_11target_archE1030ELNS1_3gpuE2ELNS1_3repE0EEENS1_30default_config_static_selectorELNS0_4arch9wavefront6targetE0EEEvSF_.num_vgpr, 34
	.set _ZN7rocprim17ROCPRIM_400000_NS6detail17trampoline_kernelINS0_14default_configENS1_22reduce_config_selectorImEEZNS1_11reduce_implILb1ES3_PmS7_mN6thrust23THRUST_200600_302600_NS4plusImEEEE10hipError_tPvRmT1_T2_T3_mT4_P12ihipStream_tbEUlT_E1_NS1_11comp_targetILNS1_3genE8ELNS1_11target_archE1030ELNS1_3gpuE2ELNS1_3repE0EEENS1_30default_config_static_selectorELNS0_4arch9wavefront6targetE0EEEvSF_.num_agpr, 0
	.set _ZN7rocprim17ROCPRIM_400000_NS6detail17trampoline_kernelINS0_14default_configENS1_22reduce_config_selectorImEEZNS1_11reduce_implILb1ES3_PmS7_mN6thrust23THRUST_200600_302600_NS4plusImEEEE10hipError_tPvRmT1_T2_T3_mT4_P12ihipStream_tbEUlT_E1_NS1_11comp_targetILNS1_3genE8ELNS1_11target_archE1030ELNS1_3gpuE2ELNS1_3repE0EEENS1_30default_config_static_selectorELNS0_4arch9wavefront6targetE0EEEvSF_.numbered_sgpr, 30
	.set _ZN7rocprim17ROCPRIM_400000_NS6detail17trampoline_kernelINS0_14default_configENS1_22reduce_config_selectorImEEZNS1_11reduce_implILb1ES3_PmS7_mN6thrust23THRUST_200600_302600_NS4plusImEEEE10hipError_tPvRmT1_T2_T3_mT4_P12ihipStream_tbEUlT_E1_NS1_11comp_targetILNS1_3genE8ELNS1_11target_archE1030ELNS1_3gpuE2ELNS1_3repE0EEENS1_30default_config_static_selectorELNS0_4arch9wavefront6targetE0EEEvSF_.num_named_barrier, 0
	.set _ZN7rocprim17ROCPRIM_400000_NS6detail17trampoline_kernelINS0_14default_configENS1_22reduce_config_selectorImEEZNS1_11reduce_implILb1ES3_PmS7_mN6thrust23THRUST_200600_302600_NS4plusImEEEE10hipError_tPvRmT1_T2_T3_mT4_P12ihipStream_tbEUlT_E1_NS1_11comp_targetILNS1_3genE8ELNS1_11target_archE1030ELNS1_3gpuE2ELNS1_3repE0EEENS1_30default_config_static_selectorELNS0_4arch9wavefront6targetE0EEEvSF_.private_seg_size, 0
	.set _ZN7rocprim17ROCPRIM_400000_NS6detail17trampoline_kernelINS0_14default_configENS1_22reduce_config_selectorImEEZNS1_11reduce_implILb1ES3_PmS7_mN6thrust23THRUST_200600_302600_NS4plusImEEEE10hipError_tPvRmT1_T2_T3_mT4_P12ihipStream_tbEUlT_E1_NS1_11comp_targetILNS1_3genE8ELNS1_11target_archE1030ELNS1_3gpuE2ELNS1_3repE0EEENS1_30default_config_static_selectorELNS0_4arch9wavefront6targetE0EEEvSF_.uses_vcc, 1
	.set _ZN7rocprim17ROCPRIM_400000_NS6detail17trampoline_kernelINS0_14default_configENS1_22reduce_config_selectorImEEZNS1_11reduce_implILb1ES3_PmS7_mN6thrust23THRUST_200600_302600_NS4plusImEEEE10hipError_tPvRmT1_T2_T3_mT4_P12ihipStream_tbEUlT_E1_NS1_11comp_targetILNS1_3genE8ELNS1_11target_archE1030ELNS1_3gpuE2ELNS1_3repE0EEENS1_30default_config_static_selectorELNS0_4arch9wavefront6targetE0EEEvSF_.uses_flat_scratch, 0
	.set _ZN7rocprim17ROCPRIM_400000_NS6detail17trampoline_kernelINS0_14default_configENS1_22reduce_config_selectorImEEZNS1_11reduce_implILb1ES3_PmS7_mN6thrust23THRUST_200600_302600_NS4plusImEEEE10hipError_tPvRmT1_T2_T3_mT4_P12ihipStream_tbEUlT_E1_NS1_11comp_targetILNS1_3genE8ELNS1_11target_archE1030ELNS1_3gpuE2ELNS1_3repE0EEENS1_30default_config_static_selectorELNS0_4arch9wavefront6targetE0EEEvSF_.has_dyn_sized_stack, 0
	.set _ZN7rocprim17ROCPRIM_400000_NS6detail17trampoline_kernelINS0_14default_configENS1_22reduce_config_selectorImEEZNS1_11reduce_implILb1ES3_PmS7_mN6thrust23THRUST_200600_302600_NS4plusImEEEE10hipError_tPvRmT1_T2_T3_mT4_P12ihipStream_tbEUlT_E1_NS1_11comp_targetILNS1_3genE8ELNS1_11target_archE1030ELNS1_3gpuE2ELNS1_3repE0EEENS1_30default_config_static_selectorELNS0_4arch9wavefront6targetE0EEEvSF_.has_recursion, 0
	.set _ZN7rocprim17ROCPRIM_400000_NS6detail17trampoline_kernelINS0_14default_configENS1_22reduce_config_selectorImEEZNS1_11reduce_implILb1ES3_PmS7_mN6thrust23THRUST_200600_302600_NS4plusImEEEE10hipError_tPvRmT1_T2_T3_mT4_P12ihipStream_tbEUlT_E1_NS1_11comp_targetILNS1_3genE8ELNS1_11target_archE1030ELNS1_3gpuE2ELNS1_3repE0EEENS1_30default_config_static_selectorELNS0_4arch9wavefront6targetE0EEEvSF_.has_indirect_call, 0
	.section	.AMDGPU.csdata,"",@progbits
; Kernel info:
; codeLenInByte = 11916
; TotalNumSgprs: 32
; NumVgprs: 34
; ScratchSize: 0
; MemoryBound: 0
; FloatMode: 240
; IeeeMode: 1
; LDSByteSize: 384 bytes/workgroup (compile time only)
; SGPRBlocks: 0
; VGPRBlocks: 4
; NumSGPRsForWavesPerEU: 32
; NumVGPRsForWavesPerEU: 34
; Occupancy: 16
; WaveLimiterHint : 1
; COMPUTE_PGM_RSRC2:SCRATCH_EN: 0
; COMPUTE_PGM_RSRC2:USER_SGPR: 6
; COMPUTE_PGM_RSRC2:TRAP_HANDLER: 0
; COMPUTE_PGM_RSRC2:TGID_X_EN: 1
; COMPUTE_PGM_RSRC2:TGID_Y_EN: 0
; COMPUTE_PGM_RSRC2:TGID_Z_EN: 0
; COMPUTE_PGM_RSRC2:TIDIG_COMP_CNT: 0
	.section	.text._ZN7rocprim17ROCPRIM_400000_NS6detail17trampoline_kernelINS0_14default_configENS1_22reduce_config_selectorImEEZNS1_11reduce_implILb1ES3_N6thrust23THRUST_200600_302600_NS11hip_rocprim35transform_pair_of_input_iterators_tImNS8_6detail15normal_iteratorINS8_10device_ptrIiEEEESF_NS8_12not_equal_toIiEEEEPmmNS8_4plusImEEEE10hipError_tPvRmT1_T2_T3_mT4_P12ihipStream_tbEUlT_E0_NS1_11comp_targetILNS1_3genE0ELNS1_11target_archE4294967295ELNS1_3gpuE0ELNS1_3repE0EEENS1_30default_config_static_selectorELNS0_4arch9wavefront6targetE0EEEvSP_,"axG",@progbits,_ZN7rocprim17ROCPRIM_400000_NS6detail17trampoline_kernelINS0_14default_configENS1_22reduce_config_selectorImEEZNS1_11reduce_implILb1ES3_N6thrust23THRUST_200600_302600_NS11hip_rocprim35transform_pair_of_input_iterators_tImNS8_6detail15normal_iteratorINS8_10device_ptrIiEEEESF_NS8_12not_equal_toIiEEEEPmmNS8_4plusImEEEE10hipError_tPvRmT1_T2_T3_mT4_P12ihipStream_tbEUlT_E0_NS1_11comp_targetILNS1_3genE0ELNS1_11target_archE4294967295ELNS1_3gpuE0ELNS1_3repE0EEENS1_30default_config_static_selectorELNS0_4arch9wavefront6targetE0EEEvSP_,comdat
	.protected	_ZN7rocprim17ROCPRIM_400000_NS6detail17trampoline_kernelINS0_14default_configENS1_22reduce_config_selectorImEEZNS1_11reduce_implILb1ES3_N6thrust23THRUST_200600_302600_NS11hip_rocprim35transform_pair_of_input_iterators_tImNS8_6detail15normal_iteratorINS8_10device_ptrIiEEEESF_NS8_12not_equal_toIiEEEEPmmNS8_4plusImEEEE10hipError_tPvRmT1_T2_T3_mT4_P12ihipStream_tbEUlT_E0_NS1_11comp_targetILNS1_3genE0ELNS1_11target_archE4294967295ELNS1_3gpuE0ELNS1_3repE0EEENS1_30default_config_static_selectorELNS0_4arch9wavefront6targetE0EEEvSP_ ; -- Begin function _ZN7rocprim17ROCPRIM_400000_NS6detail17trampoline_kernelINS0_14default_configENS1_22reduce_config_selectorImEEZNS1_11reduce_implILb1ES3_N6thrust23THRUST_200600_302600_NS11hip_rocprim35transform_pair_of_input_iterators_tImNS8_6detail15normal_iteratorINS8_10device_ptrIiEEEESF_NS8_12not_equal_toIiEEEEPmmNS8_4plusImEEEE10hipError_tPvRmT1_T2_T3_mT4_P12ihipStream_tbEUlT_E0_NS1_11comp_targetILNS1_3genE0ELNS1_11target_archE4294967295ELNS1_3gpuE0ELNS1_3repE0EEENS1_30default_config_static_selectorELNS0_4arch9wavefront6targetE0EEEvSP_
	.globl	_ZN7rocprim17ROCPRIM_400000_NS6detail17trampoline_kernelINS0_14default_configENS1_22reduce_config_selectorImEEZNS1_11reduce_implILb1ES3_N6thrust23THRUST_200600_302600_NS11hip_rocprim35transform_pair_of_input_iterators_tImNS8_6detail15normal_iteratorINS8_10device_ptrIiEEEESF_NS8_12not_equal_toIiEEEEPmmNS8_4plusImEEEE10hipError_tPvRmT1_T2_T3_mT4_P12ihipStream_tbEUlT_E0_NS1_11comp_targetILNS1_3genE0ELNS1_11target_archE4294967295ELNS1_3gpuE0ELNS1_3repE0EEENS1_30default_config_static_selectorELNS0_4arch9wavefront6targetE0EEEvSP_
	.p2align	8
	.type	_ZN7rocprim17ROCPRIM_400000_NS6detail17trampoline_kernelINS0_14default_configENS1_22reduce_config_selectorImEEZNS1_11reduce_implILb1ES3_N6thrust23THRUST_200600_302600_NS11hip_rocprim35transform_pair_of_input_iterators_tImNS8_6detail15normal_iteratorINS8_10device_ptrIiEEEESF_NS8_12not_equal_toIiEEEEPmmNS8_4plusImEEEE10hipError_tPvRmT1_T2_T3_mT4_P12ihipStream_tbEUlT_E0_NS1_11comp_targetILNS1_3genE0ELNS1_11target_archE4294967295ELNS1_3gpuE0ELNS1_3repE0EEENS1_30default_config_static_selectorELNS0_4arch9wavefront6targetE0EEEvSP_,@function
_ZN7rocprim17ROCPRIM_400000_NS6detail17trampoline_kernelINS0_14default_configENS1_22reduce_config_selectorImEEZNS1_11reduce_implILb1ES3_N6thrust23THRUST_200600_302600_NS11hip_rocprim35transform_pair_of_input_iterators_tImNS8_6detail15normal_iteratorINS8_10device_ptrIiEEEESF_NS8_12not_equal_toIiEEEEPmmNS8_4plusImEEEE10hipError_tPvRmT1_T2_T3_mT4_P12ihipStream_tbEUlT_E0_NS1_11comp_targetILNS1_3genE0ELNS1_11target_archE4294967295ELNS1_3gpuE0ELNS1_3repE0EEENS1_30default_config_static_selectorELNS0_4arch9wavefront6targetE0EEEvSP_: ; @_ZN7rocprim17ROCPRIM_400000_NS6detail17trampoline_kernelINS0_14default_configENS1_22reduce_config_selectorImEEZNS1_11reduce_implILb1ES3_N6thrust23THRUST_200600_302600_NS11hip_rocprim35transform_pair_of_input_iterators_tImNS8_6detail15normal_iteratorINS8_10device_ptrIiEEEESF_NS8_12not_equal_toIiEEEEPmmNS8_4plusImEEEE10hipError_tPvRmT1_T2_T3_mT4_P12ihipStream_tbEUlT_E0_NS1_11comp_targetILNS1_3genE0ELNS1_11target_archE4294967295ELNS1_3gpuE0ELNS1_3repE0EEENS1_30default_config_static_selectorELNS0_4arch9wavefront6targetE0EEEvSP_
; %bb.0:
	.section	.rodata,"a",@progbits
	.p2align	6, 0x0
	.amdhsa_kernel _ZN7rocprim17ROCPRIM_400000_NS6detail17trampoline_kernelINS0_14default_configENS1_22reduce_config_selectorImEEZNS1_11reduce_implILb1ES3_N6thrust23THRUST_200600_302600_NS11hip_rocprim35transform_pair_of_input_iterators_tImNS8_6detail15normal_iteratorINS8_10device_ptrIiEEEESF_NS8_12not_equal_toIiEEEEPmmNS8_4plusImEEEE10hipError_tPvRmT1_T2_T3_mT4_P12ihipStream_tbEUlT_E0_NS1_11comp_targetILNS1_3genE0ELNS1_11target_archE4294967295ELNS1_3gpuE0ELNS1_3repE0EEENS1_30default_config_static_selectorELNS0_4arch9wavefront6targetE0EEEvSP_
		.amdhsa_group_segment_fixed_size 0
		.amdhsa_private_segment_fixed_size 0
		.amdhsa_kernarg_size 80
		.amdhsa_user_sgpr_count 6
		.amdhsa_user_sgpr_private_segment_buffer 1
		.amdhsa_user_sgpr_dispatch_ptr 0
		.amdhsa_user_sgpr_queue_ptr 0
		.amdhsa_user_sgpr_kernarg_segment_ptr 1
		.amdhsa_user_sgpr_dispatch_id 0
		.amdhsa_user_sgpr_flat_scratch_init 0
		.amdhsa_user_sgpr_private_segment_size 0
		.amdhsa_wavefront_size32 1
		.amdhsa_uses_dynamic_stack 0
		.amdhsa_system_sgpr_private_segment_wavefront_offset 0
		.amdhsa_system_sgpr_workgroup_id_x 1
		.amdhsa_system_sgpr_workgroup_id_y 0
		.amdhsa_system_sgpr_workgroup_id_z 0
		.amdhsa_system_sgpr_workgroup_info 0
		.amdhsa_system_vgpr_workitem_id 0
		.amdhsa_next_free_vgpr 1
		.amdhsa_next_free_sgpr 1
		.amdhsa_reserve_vcc 0
		.amdhsa_reserve_flat_scratch 0
		.amdhsa_float_round_mode_32 0
		.amdhsa_float_round_mode_16_64 0
		.amdhsa_float_denorm_mode_32 3
		.amdhsa_float_denorm_mode_16_64 3
		.amdhsa_dx10_clamp 1
		.amdhsa_ieee_mode 1
		.amdhsa_fp16_overflow 0
		.amdhsa_workgroup_processor_mode 1
		.amdhsa_memory_ordered 1
		.amdhsa_forward_progress 1
		.amdhsa_shared_vgpr_count 0
		.amdhsa_exception_fp_ieee_invalid_op 0
		.amdhsa_exception_fp_denorm_src 0
		.amdhsa_exception_fp_ieee_div_zero 0
		.amdhsa_exception_fp_ieee_overflow 0
		.amdhsa_exception_fp_ieee_underflow 0
		.amdhsa_exception_fp_ieee_inexact 0
		.amdhsa_exception_int_div_zero 0
	.end_amdhsa_kernel
	.section	.text._ZN7rocprim17ROCPRIM_400000_NS6detail17trampoline_kernelINS0_14default_configENS1_22reduce_config_selectorImEEZNS1_11reduce_implILb1ES3_N6thrust23THRUST_200600_302600_NS11hip_rocprim35transform_pair_of_input_iterators_tImNS8_6detail15normal_iteratorINS8_10device_ptrIiEEEESF_NS8_12not_equal_toIiEEEEPmmNS8_4plusImEEEE10hipError_tPvRmT1_T2_T3_mT4_P12ihipStream_tbEUlT_E0_NS1_11comp_targetILNS1_3genE0ELNS1_11target_archE4294967295ELNS1_3gpuE0ELNS1_3repE0EEENS1_30default_config_static_selectorELNS0_4arch9wavefront6targetE0EEEvSP_,"axG",@progbits,_ZN7rocprim17ROCPRIM_400000_NS6detail17trampoline_kernelINS0_14default_configENS1_22reduce_config_selectorImEEZNS1_11reduce_implILb1ES3_N6thrust23THRUST_200600_302600_NS11hip_rocprim35transform_pair_of_input_iterators_tImNS8_6detail15normal_iteratorINS8_10device_ptrIiEEEESF_NS8_12not_equal_toIiEEEEPmmNS8_4plusImEEEE10hipError_tPvRmT1_T2_T3_mT4_P12ihipStream_tbEUlT_E0_NS1_11comp_targetILNS1_3genE0ELNS1_11target_archE4294967295ELNS1_3gpuE0ELNS1_3repE0EEENS1_30default_config_static_selectorELNS0_4arch9wavefront6targetE0EEEvSP_,comdat
.Lfunc_end38:
	.size	_ZN7rocprim17ROCPRIM_400000_NS6detail17trampoline_kernelINS0_14default_configENS1_22reduce_config_selectorImEEZNS1_11reduce_implILb1ES3_N6thrust23THRUST_200600_302600_NS11hip_rocprim35transform_pair_of_input_iterators_tImNS8_6detail15normal_iteratorINS8_10device_ptrIiEEEESF_NS8_12not_equal_toIiEEEEPmmNS8_4plusImEEEE10hipError_tPvRmT1_T2_T3_mT4_P12ihipStream_tbEUlT_E0_NS1_11comp_targetILNS1_3genE0ELNS1_11target_archE4294967295ELNS1_3gpuE0ELNS1_3repE0EEENS1_30default_config_static_selectorELNS0_4arch9wavefront6targetE0EEEvSP_, .Lfunc_end38-_ZN7rocprim17ROCPRIM_400000_NS6detail17trampoline_kernelINS0_14default_configENS1_22reduce_config_selectorImEEZNS1_11reduce_implILb1ES3_N6thrust23THRUST_200600_302600_NS11hip_rocprim35transform_pair_of_input_iterators_tImNS8_6detail15normal_iteratorINS8_10device_ptrIiEEEESF_NS8_12not_equal_toIiEEEEPmmNS8_4plusImEEEE10hipError_tPvRmT1_T2_T3_mT4_P12ihipStream_tbEUlT_E0_NS1_11comp_targetILNS1_3genE0ELNS1_11target_archE4294967295ELNS1_3gpuE0ELNS1_3repE0EEENS1_30default_config_static_selectorELNS0_4arch9wavefront6targetE0EEEvSP_
                                        ; -- End function
	.set _ZN7rocprim17ROCPRIM_400000_NS6detail17trampoline_kernelINS0_14default_configENS1_22reduce_config_selectorImEEZNS1_11reduce_implILb1ES3_N6thrust23THRUST_200600_302600_NS11hip_rocprim35transform_pair_of_input_iterators_tImNS8_6detail15normal_iteratorINS8_10device_ptrIiEEEESF_NS8_12not_equal_toIiEEEEPmmNS8_4plusImEEEE10hipError_tPvRmT1_T2_T3_mT4_P12ihipStream_tbEUlT_E0_NS1_11comp_targetILNS1_3genE0ELNS1_11target_archE4294967295ELNS1_3gpuE0ELNS1_3repE0EEENS1_30default_config_static_selectorELNS0_4arch9wavefront6targetE0EEEvSP_.num_vgpr, 0
	.set _ZN7rocprim17ROCPRIM_400000_NS6detail17trampoline_kernelINS0_14default_configENS1_22reduce_config_selectorImEEZNS1_11reduce_implILb1ES3_N6thrust23THRUST_200600_302600_NS11hip_rocprim35transform_pair_of_input_iterators_tImNS8_6detail15normal_iteratorINS8_10device_ptrIiEEEESF_NS8_12not_equal_toIiEEEEPmmNS8_4plusImEEEE10hipError_tPvRmT1_T2_T3_mT4_P12ihipStream_tbEUlT_E0_NS1_11comp_targetILNS1_3genE0ELNS1_11target_archE4294967295ELNS1_3gpuE0ELNS1_3repE0EEENS1_30default_config_static_selectorELNS0_4arch9wavefront6targetE0EEEvSP_.num_agpr, 0
	.set _ZN7rocprim17ROCPRIM_400000_NS6detail17trampoline_kernelINS0_14default_configENS1_22reduce_config_selectorImEEZNS1_11reduce_implILb1ES3_N6thrust23THRUST_200600_302600_NS11hip_rocprim35transform_pair_of_input_iterators_tImNS8_6detail15normal_iteratorINS8_10device_ptrIiEEEESF_NS8_12not_equal_toIiEEEEPmmNS8_4plusImEEEE10hipError_tPvRmT1_T2_T3_mT4_P12ihipStream_tbEUlT_E0_NS1_11comp_targetILNS1_3genE0ELNS1_11target_archE4294967295ELNS1_3gpuE0ELNS1_3repE0EEENS1_30default_config_static_selectorELNS0_4arch9wavefront6targetE0EEEvSP_.numbered_sgpr, 0
	.set _ZN7rocprim17ROCPRIM_400000_NS6detail17trampoline_kernelINS0_14default_configENS1_22reduce_config_selectorImEEZNS1_11reduce_implILb1ES3_N6thrust23THRUST_200600_302600_NS11hip_rocprim35transform_pair_of_input_iterators_tImNS8_6detail15normal_iteratorINS8_10device_ptrIiEEEESF_NS8_12not_equal_toIiEEEEPmmNS8_4plusImEEEE10hipError_tPvRmT1_T2_T3_mT4_P12ihipStream_tbEUlT_E0_NS1_11comp_targetILNS1_3genE0ELNS1_11target_archE4294967295ELNS1_3gpuE0ELNS1_3repE0EEENS1_30default_config_static_selectorELNS0_4arch9wavefront6targetE0EEEvSP_.num_named_barrier, 0
	.set _ZN7rocprim17ROCPRIM_400000_NS6detail17trampoline_kernelINS0_14default_configENS1_22reduce_config_selectorImEEZNS1_11reduce_implILb1ES3_N6thrust23THRUST_200600_302600_NS11hip_rocprim35transform_pair_of_input_iterators_tImNS8_6detail15normal_iteratorINS8_10device_ptrIiEEEESF_NS8_12not_equal_toIiEEEEPmmNS8_4plusImEEEE10hipError_tPvRmT1_T2_T3_mT4_P12ihipStream_tbEUlT_E0_NS1_11comp_targetILNS1_3genE0ELNS1_11target_archE4294967295ELNS1_3gpuE0ELNS1_3repE0EEENS1_30default_config_static_selectorELNS0_4arch9wavefront6targetE0EEEvSP_.private_seg_size, 0
	.set _ZN7rocprim17ROCPRIM_400000_NS6detail17trampoline_kernelINS0_14default_configENS1_22reduce_config_selectorImEEZNS1_11reduce_implILb1ES3_N6thrust23THRUST_200600_302600_NS11hip_rocprim35transform_pair_of_input_iterators_tImNS8_6detail15normal_iteratorINS8_10device_ptrIiEEEESF_NS8_12not_equal_toIiEEEEPmmNS8_4plusImEEEE10hipError_tPvRmT1_T2_T3_mT4_P12ihipStream_tbEUlT_E0_NS1_11comp_targetILNS1_3genE0ELNS1_11target_archE4294967295ELNS1_3gpuE0ELNS1_3repE0EEENS1_30default_config_static_selectorELNS0_4arch9wavefront6targetE0EEEvSP_.uses_vcc, 0
	.set _ZN7rocprim17ROCPRIM_400000_NS6detail17trampoline_kernelINS0_14default_configENS1_22reduce_config_selectorImEEZNS1_11reduce_implILb1ES3_N6thrust23THRUST_200600_302600_NS11hip_rocprim35transform_pair_of_input_iterators_tImNS8_6detail15normal_iteratorINS8_10device_ptrIiEEEESF_NS8_12not_equal_toIiEEEEPmmNS8_4plusImEEEE10hipError_tPvRmT1_T2_T3_mT4_P12ihipStream_tbEUlT_E0_NS1_11comp_targetILNS1_3genE0ELNS1_11target_archE4294967295ELNS1_3gpuE0ELNS1_3repE0EEENS1_30default_config_static_selectorELNS0_4arch9wavefront6targetE0EEEvSP_.uses_flat_scratch, 0
	.set _ZN7rocprim17ROCPRIM_400000_NS6detail17trampoline_kernelINS0_14default_configENS1_22reduce_config_selectorImEEZNS1_11reduce_implILb1ES3_N6thrust23THRUST_200600_302600_NS11hip_rocprim35transform_pair_of_input_iterators_tImNS8_6detail15normal_iteratorINS8_10device_ptrIiEEEESF_NS8_12not_equal_toIiEEEEPmmNS8_4plusImEEEE10hipError_tPvRmT1_T2_T3_mT4_P12ihipStream_tbEUlT_E0_NS1_11comp_targetILNS1_3genE0ELNS1_11target_archE4294967295ELNS1_3gpuE0ELNS1_3repE0EEENS1_30default_config_static_selectorELNS0_4arch9wavefront6targetE0EEEvSP_.has_dyn_sized_stack, 0
	.set _ZN7rocprim17ROCPRIM_400000_NS6detail17trampoline_kernelINS0_14default_configENS1_22reduce_config_selectorImEEZNS1_11reduce_implILb1ES3_N6thrust23THRUST_200600_302600_NS11hip_rocprim35transform_pair_of_input_iterators_tImNS8_6detail15normal_iteratorINS8_10device_ptrIiEEEESF_NS8_12not_equal_toIiEEEEPmmNS8_4plusImEEEE10hipError_tPvRmT1_T2_T3_mT4_P12ihipStream_tbEUlT_E0_NS1_11comp_targetILNS1_3genE0ELNS1_11target_archE4294967295ELNS1_3gpuE0ELNS1_3repE0EEENS1_30default_config_static_selectorELNS0_4arch9wavefront6targetE0EEEvSP_.has_recursion, 0
	.set _ZN7rocprim17ROCPRIM_400000_NS6detail17trampoline_kernelINS0_14default_configENS1_22reduce_config_selectorImEEZNS1_11reduce_implILb1ES3_N6thrust23THRUST_200600_302600_NS11hip_rocprim35transform_pair_of_input_iterators_tImNS8_6detail15normal_iteratorINS8_10device_ptrIiEEEESF_NS8_12not_equal_toIiEEEEPmmNS8_4plusImEEEE10hipError_tPvRmT1_T2_T3_mT4_P12ihipStream_tbEUlT_E0_NS1_11comp_targetILNS1_3genE0ELNS1_11target_archE4294967295ELNS1_3gpuE0ELNS1_3repE0EEENS1_30default_config_static_selectorELNS0_4arch9wavefront6targetE0EEEvSP_.has_indirect_call, 0
	.section	.AMDGPU.csdata,"",@progbits
; Kernel info:
; codeLenInByte = 0
; TotalNumSgprs: 0
; NumVgprs: 0
; ScratchSize: 0
; MemoryBound: 0
; FloatMode: 240
; IeeeMode: 1
; LDSByteSize: 0 bytes/workgroup (compile time only)
; SGPRBlocks: 0
; VGPRBlocks: 0
; NumSGPRsForWavesPerEU: 1
; NumVGPRsForWavesPerEU: 1
; Occupancy: 16
; WaveLimiterHint : 0
; COMPUTE_PGM_RSRC2:SCRATCH_EN: 0
; COMPUTE_PGM_RSRC2:USER_SGPR: 6
; COMPUTE_PGM_RSRC2:TRAP_HANDLER: 0
; COMPUTE_PGM_RSRC2:TGID_X_EN: 1
; COMPUTE_PGM_RSRC2:TGID_Y_EN: 0
; COMPUTE_PGM_RSRC2:TGID_Z_EN: 0
; COMPUTE_PGM_RSRC2:TIDIG_COMP_CNT: 0
	.section	.text._ZN7rocprim17ROCPRIM_400000_NS6detail17trampoline_kernelINS0_14default_configENS1_22reduce_config_selectorImEEZNS1_11reduce_implILb1ES3_N6thrust23THRUST_200600_302600_NS11hip_rocprim35transform_pair_of_input_iterators_tImNS8_6detail15normal_iteratorINS8_10device_ptrIiEEEESF_NS8_12not_equal_toIiEEEEPmmNS8_4plusImEEEE10hipError_tPvRmT1_T2_T3_mT4_P12ihipStream_tbEUlT_E0_NS1_11comp_targetILNS1_3genE5ELNS1_11target_archE942ELNS1_3gpuE9ELNS1_3repE0EEENS1_30default_config_static_selectorELNS0_4arch9wavefront6targetE0EEEvSP_,"axG",@progbits,_ZN7rocprim17ROCPRIM_400000_NS6detail17trampoline_kernelINS0_14default_configENS1_22reduce_config_selectorImEEZNS1_11reduce_implILb1ES3_N6thrust23THRUST_200600_302600_NS11hip_rocprim35transform_pair_of_input_iterators_tImNS8_6detail15normal_iteratorINS8_10device_ptrIiEEEESF_NS8_12not_equal_toIiEEEEPmmNS8_4plusImEEEE10hipError_tPvRmT1_T2_T3_mT4_P12ihipStream_tbEUlT_E0_NS1_11comp_targetILNS1_3genE5ELNS1_11target_archE942ELNS1_3gpuE9ELNS1_3repE0EEENS1_30default_config_static_selectorELNS0_4arch9wavefront6targetE0EEEvSP_,comdat
	.protected	_ZN7rocprim17ROCPRIM_400000_NS6detail17trampoline_kernelINS0_14default_configENS1_22reduce_config_selectorImEEZNS1_11reduce_implILb1ES3_N6thrust23THRUST_200600_302600_NS11hip_rocprim35transform_pair_of_input_iterators_tImNS8_6detail15normal_iteratorINS8_10device_ptrIiEEEESF_NS8_12not_equal_toIiEEEEPmmNS8_4plusImEEEE10hipError_tPvRmT1_T2_T3_mT4_P12ihipStream_tbEUlT_E0_NS1_11comp_targetILNS1_3genE5ELNS1_11target_archE942ELNS1_3gpuE9ELNS1_3repE0EEENS1_30default_config_static_selectorELNS0_4arch9wavefront6targetE0EEEvSP_ ; -- Begin function _ZN7rocprim17ROCPRIM_400000_NS6detail17trampoline_kernelINS0_14default_configENS1_22reduce_config_selectorImEEZNS1_11reduce_implILb1ES3_N6thrust23THRUST_200600_302600_NS11hip_rocprim35transform_pair_of_input_iterators_tImNS8_6detail15normal_iteratorINS8_10device_ptrIiEEEESF_NS8_12not_equal_toIiEEEEPmmNS8_4plusImEEEE10hipError_tPvRmT1_T2_T3_mT4_P12ihipStream_tbEUlT_E0_NS1_11comp_targetILNS1_3genE5ELNS1_11target_archE942ELNS1_3gpuE9ELNS1_3repE0EEENS1_30default_config_static_selectorELNS0_4arch9wavefront6targetE0EEEvSP_
	.globl	_ZN7rocprim17ROCPRIM_400000_NS6detail17trampoline_kernelINS0_14default_configENS1_22reduce_config_selectorImEEZNS1_11reduce_implILb1ES3_N6thrust23THRUST_200600_302600_NS11hip_rocprim35transform_pair_of_input_iterators_tImNS8_6detail15normal_iteratorINS8_10device_ptrIiEEEESF_NS8_12not_equal_toIiEEEEPmmNS8_4plusImEEEE10hipError_tPvRmT1_T2_T3_mT4_P12ihipStream_tbEUlT_E0_NS1_11comp_targetILNS1_3genE5ELNS1_11target_archE942ELNS1_3gpuE9ELNS1_3repE0EEENS1_30default_config_static_selectorELNS0_4arch9wavefront6targetE0EEEvSP_
	.p2align	8
	.type	_ZN7rocprim17ROCPRIM_400000_NS6detail17trampoline_kernelINS0_14default_configENS1_22reduce_config_selectorImEEZNS1_11reduce_implILb1ES3_N6thrust23THRUST_200600_302600_NS11hip_rocprim35transform_pair_of_input_iterators_tImNS8_6detail15normal_iteratorINS8_10device_ptrIiEEEESF_NS8_12not_equal_toIiEEEEPmmNS8_4plusImEEEE10hipError_tPvRmT1_T2_T3_mT4_P12ihipStream_tbEUlT_E0_NS1_11comp_targetILNS1_3genE5ELNS1_11target_archE942ELNS1_3gpuE9ELNS1_3repE0EEENS1_30default_config_static_selectorELNS0_4arch9wavefront6targetE0EEEvSP_,@function
_ZN7rocprim17ROCPRIM_400000_NS6detail17trampoline_kernelINS0_14default_configENS1_22reduce_config_selectorImEEZNS1_11reduce_implILb1ES3_N6thrust23THRUST_200600_302600_NS11hip_rocprim35transform_pair_of_input_iterators_tImNS8_6detail15normal_iteratorINS8_10device_ptrIiEEEESF_NS8_12not_equal_toIiEEEEPmmNS8_4plusImEEEE10hipError_tPvRmT1_T2_T3_mT4_P12ihipStream_tbEUlT_E0_NS1_11comp_targetILNS1_3genE5ELNS1_11target_archE942ELNS1_3gpuE9ELNS1_3repE0EEENS1_30default_config_static_selectorELNS0_4arch9wavefront6targetE0EEEvSP_: ; @_ZN7rocprim17ROCPRIM_400000_NS6detail17trampoline_kernelINS0_14default_configENS1_22reduce_config_selectorImEEZNS1_11reduce_implILb1ES3_N6thrust23THRUST_200600_302600_NS11hip_rocprim35transform_pair_of_input_iterators_tImNS8_6detail15normal_iteratorINS8_10device_ptrIiEEEESF_NS8_12not_equal_toIiEEEEPmmNS8_4plusImEEEE10hipError_tPvRmT1_T2_T3_mT4_P12ihipStream_tbEUlT_E0_NS1_11comp_targetILNS1_3genE5ELNS1_11target_archE942ELNS1_3gpuE9ELNS1_3repE0EEENS1_30default_config_static_selectorELNS0_4arch9wavefront6targetE0EEEvSP_
; %bb.0:
	.section	.rodata,"a",@progbits
	.p2align	6, 0x0
	.amdhsa_kernel _ZN7rocprim17ROCPRIM_400000_NS6detail17trampoline_kernelINS0_14default_configENS1_22reduce_config_selectorImEEZNS1_11reduce_implILb1ES3_N6thrust23THRUST_200600_302600_NS11hip_rocprim35transform_pair_of_input_iterators_tImNS8_6detail15normal_iteratorINS8_10device_ptrIiEEEESF_NS8_12not_equal_toIiEEEEPmmNS8_4plusImEEEE10hipError_tPvRmT1_T2_T3_mT4_P12ihipStream_tbEUlT_E0_NS1_11comp_targetILNS1_3genE5ELNS1_11target_archE942ELNS1_3gpuE9ELNS1_3repE0EEENS1_30default_config_static_selectorELNS0_4arch9wavefront6targetE0EEEvSP_
		.amdhsa_group_segment_fixed_size 0
		.amdhsa_private_segment_fixed_size 0
		.amdhsa_kernarg_size 80
		.amdhsa_user_sgpr_count 6
		.amdhsa_user_sgpr_private_segment_buffer 1
		.amdhsa_user_sgpr_dispatch_ptr 0
		.amdhsa_user_sgpr_queue_ptr 0
		.amdhsa_user_sgpr_kernarg_segment_ptr 1
		.amdhsa_user_sgpr_dispatch_id 0
		.amdhsa_user_sgpr_flat_scratch_init 0
		.amdhsa_user_sgpr_private_segment_size 0
		.amdhsa_wavefront_size32 1
		.amdhsa_uses_dynamic_stack 0
		.amdhsa_system_sgpr_private_segment_wavefront_offset 0
		.amdhsa_system_sgpr_workgroup_id_x 1
		.amdhsa_system_sgpr_workgroup_id_y 0
		.amdhsa_system_sgpr_workgroup_id_z 0
		.amdhsa_system_sgpr_workgroup_info 0
		.amdhsa_system_vgpr_workitem_id 0
		.amdhsa_next_free_vgpr 1
		.amdhsa_next_free_sgpr 1
		.amdhsa_reserve_vcc 0
		.amdhsa_reserve_flat_scratch 0
		.amdhsa_float_round_mode_32 0
		.amdhsa_float_round_mode_16_64 0
		.amdhsa_float_denorm_mode_32 3
		.amdhsa_float_denorm_mode_16_64 3
		.amdhsa_dx10_clamp 1
		.amdhsa_ieee_mode 1
		.amdhsa_fp16_overflow 0
		.amdhsa_workgroup_processor_mode 1
		.amdhsa_memory_ordered 1
		.amdhsa_forward_progress 1
		.amdhsa_shared_vgpr_count 0
		.amdhsa_exception_fp_ieee_invalid_op 0
		.amdhsa_exception_fp_denorm_src 0
		.amdhsa_exception_fp_ieee_div_zero 0
		.amdhsa_exception_fp_ieee_overflow 0
		.amdhsa_exception_fp_ieee_underflow 0
		.amdhsa_exception_fp_ieee_inexact 0
		.amdhsa_exception_int_div_zero 0
	.end_amdhsa_kernel
	.section	.text._ZN7rocprim17ROCPRIM_400000_NS6detail17trampoline_kernelINS0_14default_configENS1_22reduce_config_selectorImEEZNS1_11reduce_implILb1ES3_N6thrust23THRUST_200600_302600_NS11hip_rocprim35transform_pair_of_input_iterators_tImNS8_6detail15normal_iteratorINS8_10device_ptrIiEEEESF_NS8_12not_equal_toIiEEEEPmmNS8_4plusImEEEE10hipError_tPvRmT1_T2_T3_mT4_P12ihipStream_tbEUlT_E0_NS1_11comp_targetILNS1_3genE5ELNS1_11target_archE942ELNS1_3gpuE9ELNS1_3repE0EEENS1_30default_config_static_selectorELNS0_4arch9wavefront6targetE0EEEvSP_,"axG",@progbits,_ZN7rocprim17ROCPRIM_400000_NS6detail17trampoline_kernelINS0_14default_configENS1_22reduce_config_selectorImEEZNS1_11reduce_implILb1ES3_N6thrust23THRUST_200600_302600_NS11hip_rocprim35transform_pair_of_input_iterators_tImNS8_6detail15normal_iteratorINS8_10device_ptrIiEEEESF_NS8_12not_equal_toIiEEEEPmmNS8_4plusImEEEE10hipError_tPvRmT1_T2_T3_mT4_P12ihipStream_tbEUlT_E0_NS1_11comp_targetILNS1_3genE5ELNS1_11target_archE942ELNS1_3gpuE9ELNS1_3repE0EEENS1_30default_config_static_selectorELNS0_4arch9wavefront6targetE0EEEvSP_,comdat
.Lfunc_end39:
	.size	_ZN7rocprim17ROCPRIM_400000_NS6detail17trampoline_kernelINS0_14default_configENS1_22reduce_config_selectorImEEZNS1_11reduce_implILb1ES3_N6thrust23THRUST_200600_302600_NS11hip_rocprim35transform_pair_of_input_iterators_tImNS8_6detail15normal_iteratorINS8_10device_ptrIiEEEESF_NS8_12not_equal_toIiEEEEPmmNS8_4plusImEEEE10hipError_tPvRmT1_T2_T3_mT4_P12ihipStream_tbEUlT_E0_NS1_11comp_targetILNS1_3genE5ELNS1_11target_archE942ELNS1_3gpuE9ELNS1_3repE0EEENS1_30default_config_static_selectorELNS0_4arch9wavefront6targetE0EEEvSP_, .Lfunc_end39-_ZN7rocprim17ROCPRIM_400000_NS6detail17trampoline_kernelINS0_14default_configENS1_22reduce_config_selectorImEEZNS1_11reduce_implILb1ES3_N6thrust23THRUST_200600_302600_NS11hip_rocprim35transform_pair_of_input_iterators_tImNS8_6detail15normal_iteratorINS8_10device_ptrIiEEEESF_NS8_12not_equal_toIiEEEEPmmNS8_4plusImEEEE10hipError_tPvRmT1_T2_T3_mT4_P12ihipStream_tbEUlT_E0_NS1_11comp_targetILNS1_3genE5ELNS1_11target_archE942ELNS1_3gpuE9ELNS1_3repE0EEENS1_30default_config_static_selectorELNS0_4arch9wavefront6targetE0EEEvSP_
                                        ; -- End function
	.set _ZN7rocprim17ROCPRIM_400000_NS6detail17trampoline_kernelINS0_14default_configENS1_22reduce_config_selectorImEEZNS1_11reduce_implILb1ES3_N6thrust23THRUST_200600_302600_NS11hip_rocprim35transform_pair_of_input_iterators_tImNS8_6detail15normal_iteratorINS8_10device_ptrIiEEEESF_NS8_12not_equal_toIiEEEEPmmNS8_4plusImEEEE10hipError_tPvRmT1_T2_T3_mT4_P12ihipStream_tbEUlT_E0_NS1_11comp_targetILNS1_3genE5ELNS1_11target_archE942ELNS1_3gpuE9ELNS1_3repE0EEENS1_30default_config_static_selectorELNS0_4arch9wavefront6targetE0EEEvSP_.num_vgpr, 0
	.set _ZN7rocprim17ROCPRIM_400000_NS6detail17trampoline_kernelINS0_14default_configENS1_22reduce_config_selectorImEEZNS1_11reduce_implILb1ES3_N6thrust23THRUST_200600_302600_NS11hip_rocprim35transform_pair_of_input_iterators_tImNS8_6detail15normal_iteratorINS8_10device_ptrIiEEEESF_NS8_12not_equal_toIiEEEEPmmNS8_4plusImEEEE10hipError_tPvRmT1_T2_T3_mT4_P12ihipStream_tbEUlT_E0_NS1_11comp_targetILNS1_3genE5ELNS1_11target_archE942ELNS1_3gpuE9ELNS1_3repE0EEENS1_30default_config_static_selectorELNS0_4arch9wavefront6targetE0EEEvSP_.num_agpr, 0
	.set _ZN7rocprim17ROCPRIM_400000_NS6detail17trampoline_kernelINS0_14default_configENS1_22reduce_config_selectorImEEZNS1_11reduce_implILb1ES3_N6thrust23THRUST_200600_302600_NS11hip_rocprim35transform_pair_of_input_iterators_tImNS8_6detail15normal_iteratorINS8_10device_ptrIiEEEESF_NS8_12not_equal_toIiEEEEPmmNS8_4plusImEEEE10hipError_tPvRmT1_T2_T3_mT4_P12ihipStream_tbEUlT_E0_NS1_11comp_targetILNS1_3genE5ELNS1_11target_archE942ELNS1_3gpuE9ELNS1_3repE0EEENS1_30default_config_static_selectorELNS0_4arch9wavefront6targetE0EEEvSP_.numbered_sgpr, 0
	.set _ZN7rocprim17ROCPRIM_400000_NS6detail17trampoline_kernelINS0_14default_configENS1_22reduce_config_selectorImEEZNS1_11reduce_implILb1ES3_N6thrust23THRUST_200600_302600_NS11hip_rocprim35transform_pair_of_input_iterators_tImNS8_6detail15normal_iteratorINS8_10device_ptrIiEEEESF_NS8_12not_equal_toIiEEEEPmmNS8_4plusImEEEE10hipError_tPvRmT1_T2_T3_mT4_P12ihipStream_tbEUlT_E0_NS1_11comp_targetILNS1_3genE5ELNS1_11target_archE942ELNS1_3gpuE9ELNS1_3repE0EEENS1_30default_config_static_selectorELNS0_4arch9wavefront6targetE0EEEvSP_.num_named_barrier, 0
	.set _ZN7rocprim17ROCPRIM_400000_NS6detail17trampoline_kernelINS0_14default_configENS1_22reduce_config_selectorImEEZNS1_11reduce_implILb1ES3_N6thrust23THRUST_200600_302600_NS11hip_rocprim35transform_pair_of_input_iterators_tImNS8_6detail15normal_iteratorINS8_10device_ptrIiEEEESF_NS8_12not_equal_toIiEEEEPmmNS8_4plusImEEEE10hipError_tPvRmT1_T2_T3_mT4_P12ihipStream_tbEUlT_E0_NS1_11comp_targetILNS1_3genE5ELNS1_11target_archE942ELNS1_3gpuE9ELNS1_3repE0EEENS1_30default_config_static_selectorELNS0_4arch9wavefront6targetE0EEEvSP_.private_seg_size, 0
	.set _ZN7rocprim17ROCPRIM_400000_NS6detail17trampoline_kernelINS0_14default_configENS1_22reduce_config_selectorImEEZNS1_11reduce_implILb1ES3_N6thrust23THRUST_200600_302600_NS11hip_rocprim35transform_pair_of_input_iterators_tImNS8_6detail15normal_iteratorINS8_10device_ptrIiEEEESF_NS8_12not_equal_toIiEEEEPmmNS8_4plusImEEEE10hipError_tPvRmT1_T2_T3_mT4_P12ihipStream_tbEUlT_E0_NS1_11comp_targetILNS1_3genE5ELNS1_11target_archE942ELNS1_3gpuE9ELNS1_3repE0EEENS1_30default_config_static_selectorELNS0_4arch9wavefront6targetE0EEEvSP_.uses_vcc, 0
	.set _ZN7rocprim17ROCPRIM_400000_NS6detail17trampoline_kernelINS0_14default_configENS1_22reduce_config_selectorImEEZNS1_11reduce_implILb1ES3_N6thrust23THRUST_200600_302600_NS11hip_rocprim35transform_pair_of_input_iterators_tImNS8_6detail15normal_iteratorINS8_10device_ptrIiEEEESF_NS8_12not_equal_toIiEEEEPmmNS8_4plusImEEEE10hipError_tPvRmT1_T2_T3_mT4_P12ihipStream_tbEUlT_E0_NS1_11comp_targetILNS1_3genE5ELNS1_11target_archE942ELNS1_3gpuE9ELNS1_3repE0EEENS1_30default_config_static_selectorELNS0_4arch9wavefront6targetE0EEEvSP_.uses_flat_scratch, 0
	.set _ZN7rocprim17ROCPRIM_400000_NS6detail17trampoline_kernelINS0_14default_configENS1_22reduce_config_selectorImEEZNS1_11reduce_implILb1ES3_N6thrust23THRUST_200600_302600_NS11hip_rocprim35transform_pair_of_input_iterators_tImNS8_6detail15normal_iteratorINS8_10device_ptrIiEEEESF_NS8_12not_equal_toIiEEEEPmmNS8_4plusImEEEE10hipError_tPvRmT1_T2_T3_mT4_P12ihipStream_tbEUlT_E0_NS1_11comp_targetILNS1_3genE5ELNS1_11target_archE942ELNS1_3gpuE9ELNS1_3repE0EEENS1_30default_config_static_selectorELNS0_4arch9wavefront6targetE0EEEvSP_.has_dyn_sized_stack, 0
	.set _ZN7rocprim17ROCPRIM_400000_NS6detail17trampoline_kernelINS0_14default_configENS1_22reduce_config_selectorImEEZNS1_11reduce_implILb1ES3_N6thrust23THRUST_200600_302600_NS11hip_rocprim35transform_pair_of_input_iterators_tImNS8_6detail15normal_iteratorINS8_10device_ptrIiEEEESF_NS8_12not_equal_toIiEEEEPmmNS8_4plusImEEEE10hipError_tPvRmT1_T2_T3_mT4_P12ihipStream_tbEUlT_E0_NS1_11comp_targetILNS1_3genE5ELNS1_11target_archE942ELNS1_3gpuE9ELNS1_3repE0EEENS1_30default_config_static_selectorELNS0_4arch9wavefront6targetE0EEEvSP_.has_recursion, 0
	.set _ZN7rocprim17ROCPRIM_400000_NS6detail17trampoline_kernelINS0_14default_configENS1_22reduce_config_selectorImEEZNS1_11reduce_implILb1ES3_N6thrust23THRUST_200600_302600_NS11hip_rocprim35transform_pair_of_input_iterators_tImNS8_6detail15normal_iteratorINS8_10device_ptrIiEEEESF_NS8_12not_equal_toIiEEEEPmmNS8_4plusImEEEE10hipError_tPvRmT1_T2_T3_mT4_P12ihipStream_tbEUlT_E0_NS1_11comp_targetILNS1_3genE5ELNS1_11target_archE942ELNS1_3gpuE9ELNS1_3repE0EEENS1_30default_config_static_selectorELNS0_4arch9wavefront6targetE0EEEvSP_.has_indirect_call, 0
	.section	.AMDGPU.csdata,"",@progbits
; Kernel info:
; codeLenInByte = 0
; TotalNumSgprs: 0
; NumVgprs: 0
; ScratchSize: 0
; MemoryBound: 0
; FloatMode: 240
; IeeeMode: 1
; LDSByteSize: 0 bytes/workgroup (compile time only)
; SGPRBlocks: 0
; VGPRBlocks: 0
; NumSGPRsForWavesPerEU: 1
; NumVGPRsForWavesPerEU: 1
; Occupancy: 16
; WaveLimiterHint : 0
; COMPUTE_PGM_RSRC2:SCRATCH_EN: 0
; COMPUTE_PGM_RSRC2:USER_SGPR: 6
; COMPUTE_PGM_RSRC2:TRAP_HANDLER: 0
; COMPUTE_PGM_RSRC2:TGID_X_EN: 1
; COMPUTE_PGM_RSRC2:TGID_Y_EN: 0
; COMPUTE_PGM_RSRC2:TGID_Z_EN: 0
; COMPUTE_PGM_RSRC2:TIDIG_COMP_CNT: 0
	.section	.text._ZN7rocprim17ROCPRIM_400000_NS6detail17trampoline_kernelINS0_14default_configENS1_22reduce_config_selectorImEEZNS1_11reduce_implILb1ES3_N6thrust23THRUST_200600_302600_NS11hip_rocprim35transform_pair_of_input_iterators_tImNS8_6detail15normal_iteratorINS8_10device_ptrIiEEEESF_NS8_12not_equal_toIiEEEEPmmNS8_4plusImEEEE10hipError_tPvRmT1_T2_T3_mT4_P12ihipStream_tbEUlT_E0_NS1_11comp_targetILNS1_3genE4ELNS1_11target_archE910ELNS1_3gpuE8ELNS1_3repE0EEENS1_30default_config_static_selectorELNS0_4arch9wavefront6targetE0EEEvSP_,"axG",@progbits,_ZN7rocprim17ROCPRIM_400000_NS6detail17trampoline_kernelINS0_14default_configENS1_22reduce_config_selectorImEEZNS1_11reduce_implILb1ES3_N6thrust23THRUST_200600_302600_NS11hip_rocprim35transform_pair_of_input_iterators_tImNS8_6detail15normal_iteratorINS8_10device_ptrIiEEEESF_NS8_12not_equal_toIiEEEEPmmNS8_4plusImEEEE10hipError_tPvRmT1_T2_T3_mT4_P12ihipStream_tbEUlT_E0_NS1_11comp_targetILNS1_3genE4ELNS1_11target_archE910ELNS1_3gpuE8ELNS1_3repE0EEENS1_30default_config_static_selectorELNS0_4arch9wavefront6targetE0EEEvSP_,comdat
	.protected	_ZN7rocprim17ROCPRIM_400000_NS6detail17trampoline_kernelINS0_14default_configENS1_22reduce_config_selectorImEEZNS1_11reduce_implILb1ES3_N6thrust23THRUST_200600_302600_NS11hip_rocprim35transform_pair_of_input_iterators_tImNS8_6detail15normal_iteratorINS8_10device_ptrIiEEEESF_NS8_12not_equal_toIiEEEEPmmNS8_4plusImEEEE10hipError_tPvRmT1_T2_T3_mT4_P12ihipStream_tbEUlT_E0_NS1_11comp_targetILNS1_3genE4ELNS1_11target_archE910ELNS1_3gpuE8ELNS1_3repE0EEENS1_30default_config_static_selectorELNS0_4arch9wavefront6targetE0EEEvSP_ ; -- Begin function _ZN7rocprim17ROCPRIM_400000_NS6detail17trampoline_kernelINS0_14default_configENS1_22reduce_config_selectorImEEZNS1_11reduce_implILb1ES3_N6thrust23THRUST_200600_302600_NS11hip_rocprim35transform_pair_of_input_iterators_tImNS8_6detail15normal_iteratorINS8_10device_ptrIiEEEESF_NS8_12not_equal_toIiEEEEPmmNS8_4plusImEEEE10hipError_tPvRmT1_T2_T3_mT4_P12ihipStream_tbEUlT_E0_NS1_11comp_targetILNS1_3genE4ELNS1_11target_archE910ELNS1_3gpuE8ELNS1_3repE0EEENS1_30default_config_static_selectorELNS0_4arch9wavefront6targetE0EEEvSP_
	.globl	_ZN7rocprim17ROCPRIM_400000_NS6detail17trampoline_kernelINS0_14default_configENS1_22reduce_config_selectorImEEZNS1_11reduce_implILb1ES3_N6thrust23THRUST_200600_302600_NS11hip_rocprim35transform_pair_of_input_iterators_tImNS8_6detail15normal_iteratorINS8_10device_ptrIiEEEESF_NS8_12not_equal_toIiEEEEPmmNS8_4plusImEEEE10hipError_tPvRmT1_T2_T3_mT4_P12ihipStream_tbEUlT_E0_NS1_11comp_targetILNS1_3genE4ELNS1_11target_archE910ELNS1_3gpuE8ELNS1_3repE0EEENS1_30default_config_static_selectorELNS0_4arch9wavefront6targetE0EEEvSP_
	.p2align	8
	.type	_ZN7rocprim17ROCPRIM_400000_NS6detail17trampoline_kernelINS0_14default_configENS1_22reduce_config_selectorImEEZNS1_11reduce_implILb1ES3_N6thrust23THRUST_200600_302600_NS11hip_rocprim35transform_pair_of_input_iterators_tImNS8_6detail15normal_iteratorINS8_10device_ptrIiEEEESF_NS8_12not_equal_toIiEEEEPmmNS8_4plusImEEEE10hipError_tPvRmT1_T2_T3_mT4_P12ihipStream_tbEUlT_E0_NS1_11comp_targetILNS1_3genE4ELNS1_11target_archE910ELNS1_3gpuE8ELNS1_3repE0EEENS1_30default_config_static_selectorELNS0_4arch9wavefront6targetE0EEEvSP_,@function
_ZN7rocprim17ROCPRIM_400000_NS6detail17trampoline_kernelINS0_14default_configENS1_22reduce_config_selectorImEEZNS1_11reduce_implILb1ES3_N6thrust23THRUST_200600_302600_NS11hip_rocprim35transform_pair_of_input_iterators_tImNS8_6detail15normal_iteratorINS8_10device_ptrIiEEEESF_NS8_12not_equal_toIiEEEEPmmNS8_4plusImEEEE10hipError_tPvRmT1_T2_T3_mT4_P12ihipStream_tbEUlT_E0_NS1_11comp_targetILNS1_3genE4ELNS1_11target_archE910ELNS1_3gpuE8ELNS1_3repE0EEENS1_30default_config_static_selectorELNS0_4arch9wavefront6targetE0EEEvSP_: ; @_ZN7rocprim17ROCPRIM_400000_NS6detail17trampoline_kernelINS0_14default_configENS1_22reduce_config_selectorImEEZNS1_11reduce_implILb1ES3_N6thrust23THRUST_200600_302600_NS11hip_rocprim35transform_pair_of_input_iterators_tImNS8_6detail15normal_iteratorINS8_10device_ptrIiEEEESF_NS8_12not_equal_toIiEEEEPmmNS8_4plusImEEEE10hipError_tPvRmT1_T2_T3_mT4_P12ihipStream_tbEUlT_E0_NS1_11comp_targetILNS1_3genE4ELNS1_11target_archE910ELNS1_3gpuE8ELNS1_3repE0EEENS1_30default_config_static_selectorELNS0_4arch9wavefront6targetE0EEEvSP_
; %bb.0:
	.section	.rodata,"a",@progbits
	.p2align	6, 0x0
	.amdhsa_kernel _ZN7rocprim17ROCPRIM_400000_NS6detail17trampoline_kernelINS0_14default_configENS1_22reduce_config_selectorImEEZNS1_11reduce_implILb1ES3_N6thrust23THRUST_200600_302600_NS11hip_rocprim35transform_pair_of_input_iterators_tImNS8_6detail15normal_iteratorINS8_10device_ptrIiEEEESF_NS8_12not_equal_toIiEEEEPmmNS8_4plusImEEEE10hipError_tPvRmT1_T2_T3_mT4_P12ihipStream_tbEUlT_E0_NS1_11comp_targetILNS1_3genE4ELNS1_11target_archE910ELNS1_3gpuE8ELNS1_3repE0EEENS1_30default_config_static_selectorELNS0_4arch9wavefront6targetE0EEEvSP_
		.amdhsa_group_segment_fixed_size 0
		.amdhsa_private_segment_fixed_size 0
		.amdhsa_kernarg_size 80
		.amdhsa_user_sgpr_count 6
		.amdhsa_user_sgpr_private_segment_buffer 1
		.amdhsa_user_sgpr_dispatch_ptr 0
		.amdhsa_user_sgpr_queue_ptr 0
		.amdhsa_user_sgpr_kernarg_segment_ptr 1
		.amdhsa_user_sgpr_dispatch_id 0
		.amdhsa_user_sgpr_flat_scratch_init 0
		.amdhsa_user_sgpr_private_segment_size 0
		.amdhsa_wavefront_size32 1
		.amdhsa_uses_dynamic_stack 0
		.amdhsa_system_sgpr_private_segment_wavefront_offset 0
		.amdhsa_system_sgpr_workgroup_id_x 1
		.amdhsa_system_sgpr_workgroup_id_y 0
		.amdhsa_system_sgpr_workgroup_id_z 0
		.amdhsa_system_sgpr_workgroup_info 0
		.amdhsa_system_vgpr_workitem_id 0
		.amdhsa_next_free_vgpr 1
		.amdhsa_next_free_sgpr 1
		.amdhsa_reserve_vcc 0
		.amdhsa_reserve_flat_scratch 0
		.amdhsa_float_round_mode_32 0
		.amdhsa_float_round_mode_16_64 0
		.amdhsa_float_denorm_mode_32 3
		.amdhsa_float_denorm_mode_16_64 3
		.amdhsa_dx10_clamp 1
		.amdhsa_ieee_mode 1
		.amdhsa_fp16_overflow 0
		.amdhsa_workgroup_processor_mode 1
		.amdhsa_memory_ordered 1
		.amdhsa_forward_progress 1
		.amdhsa_shared_vgpr_count 0
		.amdhsa_exception_fp_ieee_invalid_op 0
		.amdhsa_exception_fp_denorm_src 0
		.amdhsa_exception_fp_ieee_div_zero 0
		.amdhsa_exception_fp_ieee_overflow 0
		.amdhsa_exception_fp_ieee_underflow 0
		.amdhsa_exception_fp_ieee_inexact 0
		.amdhsa_exception_int_div_zero 0
	.end_amdhsa_kernel
	.section	.text._ZN7rocprim17ROCPRIM_400000_NS6detail17trampoline_kernelINS0_14default_configENS1_22reduce_config_selectorImEEZNS1_11reduce_implILb1ES3_N6thrust23THRUST_200600_302600_NS11hip_rocprim35transform_pair_of_input_iterators_tImNS8_6detail15normal_iteratorINS8_10device_ptrIiEEEESF_NS8_12not_equal_toIiEEEEPmmNS8_4plusImEEEE10hipError_tPvRmT1_T2_T3_mT4_P12ihipStream_tbEUlT_E0_NS1_11comp_targetILNS1_3genE4ELNS1_11target_archE910ELNS1_3gpuE8ELNS1_3repE0EEENS1_30default_config_static_selectorELNS0_4arch9wavefront6targetE0EEEvSP_,"axG",@progbits,_ZN7rocprim17ROCPRIM_400000_NS6detail17trampoline_kernelINS0_14default_configENS1_22reduce_config_selectorImEEZNS1_11reduce_implILb1ES3_N6thrust23THRUST_200600_302600_NS11hip_rocprim35transform_pair_of_input_iterators_tImNS8_6detail15normal_iteratorINS8_10device_ptrIiEEEESF_NS8_12not_equal_toIiEEEEPmmNS8_4plusImEEEE10hipError_tPvRmT1_T2_T3_mT4_P12ihipStream_tbEUlT_E0_NS1_11comp_targetILNS1_3genE4ELNS1_11target_archE910ELNS1_3gpuE8ELNS1_3repE0EEENS1_30default_config_static_selectorELNS0_4arch9wavefront6targetE0EEEvSP_,comdat
.Lfunc_end40:
	.size	_ZN7rocprim17ROCPRIM_400000_NS6detail17trampoline_kernelINS0_14default_configENS1_22reduce_config_selectorImEEZNS1_11reduce_implILb1ES3_N6thrust23THRUST_200600_302600_NS11hip_rocprim35transform_pair_of_input_iterators_tImNS8_6detail15normal_iteratorINS8_10device_ptrIiEEEESF_NS8_12not_equal_toIiEEEEPmmNS8_4plusImEEEE10hipError_tPvRmT1_T2_T3_mT4_P12ihipStream_tbEUlT_E0_NS1_11comp_targetILNS1_3genE4ELNS1_11target_archE910ELNS1_3gpuE8ELNS1_3repE0EEENS1_30default_config_static_selectorELNS0_4arch9wavefront6targetE0EEEvSP_, .Lfunc_end40-_ZN7rocprim17ROCPRIM_400000_NS6detail17trampoline_kernelINS0_14default_configENS1_22reduce_config_selectorImEEZNS1_11reduce_implILb1ES3_N6thrust23THRUST_200600_302600_NS11hip_rocprim35transform_pair_of_input_iterators_tImNS8_6detail15normal_iteratorINS8_10device_ptrIiEEEESF_NS8_12not_equal_toIiEEEEPmmNS8_4plusImEEEE10hipError_tPvRmT1_T2_T3_mT4_P12ihipStream_tbEUlT_E0_NS1_11comp_targetILNS1_3genE4ELNS1_11target_archE910ELNS1_3gpuE8ELNS1_3repE0EEENS1_30default_config_static_selectorELNS0_4arch9wavefront6targetE0EEEvSP_
                                        ; -- End function
	.set _ZN7rocprim17ROCPRIM_400000_NS6detail17trampoline_kernelINS0_14default_configENS1_22reduce_config_selectorImEEZNS1_11reduce_implILb1ES3_N6thrust23THRUST_200600_302600_NS11hip_rocprim35transform_pair_of_input_iterators_tImNS8_6detail15normal_iteratorINS8_10device_ptrIiEEEESF_NS8_12not_equal_toIiEEEEPmmNS8_4plusImEEEE10hipError_tPvRmT1_T2_T3_mT4_P12ihipStream_tbEUlT_E0_NS1_11comp_targetILNS1_3genE4ELNS1_11target_archE910ELNS1_3gpuE8ELNS1_3repE0EEENS1_30default_config_static_selectorELNS0_4arch9wavefront6targetE0EEEvSP_.num_vgpr, 0
	.set _ZN7rocprim17ROCPRIM_400000_NS6detail17trampoline_kernelINS0_14default_configENS1_22reduce_config_selectorImEEZNS1_11reduce_implILb1ES3_N6thrust23THRUST_200600_302600_NS11hip_rocprim35transform_pair_of_input_iterators_tImNS8_6detail15normal_iteratorINS8_10device_ptrIiEEEESF_NS8_12not_equal_toIiEEEEPmmNS8_4plusImEEEE10hipError_tPvRmT1_T2_T3_mT4_P12ihipStream_tbEUlT_E0_NS1_11comp_targetILNS1_3genE4ELNS1_11target_archE910ELNS1_3gpuE8ELNS1_3repE0EEENS1_30default_config_static_selectorELNS0_4arch9wavefront6targetE0EEEvSP_.num_agpr, 0
	.set _ZN7rocprim17ROCPRIM_400000_NS6detail17trampoline_kernelINS0_14default_configENS1_22reduce_config_selectorImEEZNS1_11reduce_implILb1ES3_N6thrust23THRUST_200600_302600_NS11hip_rocprim35transform_pair_of_input_iterators_tImNS8_6detail15normal_iteratorINS8_10device_ptrIiEEEESF_NS8_12not_equal_toIiEEEEPmmNS8_4plusImEEEE10hipError_tPvRmT1_T2_T3_mT4_P12ihipStream_tbEUlT_E0_NS1_11comp_targetILNS1_3genE4ELNS1_11target_archE910ELNS1_3gpuE8ELNS1_3repE0EEENS1_30default_config_static_selectorELNS0_4arch9wavefront6targetE0EEEvSP_.numbered_sgpr, 0
	.set _ZN7rocprim17ROCPRIM_400000_NS6detail17trampoline_kernelINS0_14default_configENS1_22reduce_config_selectorImEEZNS1_11reduce_implILb1ES3_N6thrust23THRUST_200600_302600_NS11hip_rocprim35transform_pair_of_input_iterators_tImNS8_6detail15normal_iteratorINS8_10device_ptrIiEEEESF_NS8_12not_equal_toIiEEEEPmmNS8_4plusImEEEE10hipError_tPvRmT1_T2_T3_mT4_P12ihipStream_tbEUlT_E0_NS1_11comp_targetILNS1_3genE4ELNS1_11target_archE910ELNS1_3gpuE8ELNS1_3repE0EEENS1_30default_config_static_selectorELNS0_4arch9wavefront6targetE0EEEvSP_.num_named_barrier, 0
	.set _ZN7rocprim17ROCPRIM_400000_NS6detail17trampoline_kernelINS0_14default_configENS1_22reduce_config_selectorImEEZNS1_11reduce_implILb1ES3_N6thrust23THRUST_200600_302600_NS11hip_rocprim35transform_pair_of_input_iterators_tImNS8_6detail15normal_iteratorINS8_10device_ptrIiEEEESF_NS8_12not_equal_toIiEEEEPmmNS8_4plusImEEEE10hipError_tPvRmT1_T2_T3_mT4_P12ihipStream_tbEUlT_E0_NS1_11comp_targetILNS1_3genE4ELNS1_11target_archE910ELNS1_3gpuE8ELNS1_3repE0EEENS1_30default_config_static_selectorELNS0_4arch9wavefront6targetE0EEEvSP_.private_seg_size, 0
	.set _ZN7rocprim17ROCPRIM_400000_NS6detail17trampoline_kernelINS0_14default_configENS1_22reduce_config_selectorImEEZNS1_11reduce_implILb1ES3_N6thrust23THRUST_200600_302600_NS11hip_rocprim35transform_pair_of_input_iterators_tImNS8_6detail15normal_iteratorINS8_10device_ptrIiEEEESF_NS8_12not_equal_toIiEEEEPmmNS8_4plusImEEEE10hipError_tPvRmT1_T2_T3_mT4_P12ihipStream_tbEUlT_E0_NS1_11comp_targetILNS1_3genE4ELNS1_11target_archE910ELNS1_3gpuE8ELNS1_3repE0EEENS1_30default_config_static_selectorELNS0_4arch9wavefront6targetE0EEEvSP_.uses_vcc, 0
	.set _ZN7rocprim17ROCPRIM_400000_NS6detail17trampoline_kernelINS0_14default_configENS1_22reduce_config_selectorImEEZNS1_11reduce_implILb1ES3_N6thrust23THRUST_200600_302600_NS11hip_rocprim35transform_pair_of_input_iterators_tImNS8_6detail15normal_iteratorINS8_10device_ptrIiEEEESF_NS8_12not_equal_toIiEEEEPmmNS8_4plusImEEEE10hipError_tPvRmT1_T2_T3_mT4_P12ihipStream_tbEUlT_E0_NS1_11comp_targetILNS1_3genE4ELNS1_11target_archE910ELNS1_3gpuE8ELNS1_3repE0EEENS1_30default_config_static_selectorELNS0_4arch9wavefront6targetE0EEEvSP_.uses_flat_scratch, 0
	.set _ZN7rocprim17ROCPRIM_400000_NS6detail17trampoline_kernelINS0_14default_configENS1_22reduce_config_selectorImEEZNS1_11reduce_implILb1ES3_N6thrust23THRUST_200600_302600_NS11hip_rocprim35transform_pair_of_input_iterators_tImNS8_6detail15normal_iteratorINS8_10device_ptrIiEEEESF_NS8_12not_equal_toIiEEEEPmmNS8_4plusImEEEE10hipError_tPvRmT1_T2_T3_mT4_P12ihipStream_tbEUlT_E0_NS1_11comp_targetILNS1_3genE4ELNS1_11target_archE910ELNS1_3gpuE8ELNS1_3repE0EEENS1_30default_config_static_selectorELNS0_4arch9wavefront6targetE0EEEvSP_.has_dyn_sized_stack, 0
	.set _ZN7rocprim17ROCPRIM_400000_NS6detail17trampoline_kernelINS0_14default_configENS1_22reduce_config_selectorImEEZNS1_11reduce_implILb1ES3_N6thrust23THRUST_200600_302600_NS11hip_rocprim35transform_pair_of_input_iterators_tImNS8_6detail15normal_iteratorINS8_10device_ptrIiEEEESF_NS8_12not_equal_toIiEEEEPmmNS8_4plusImEEEE10hipError_tPvRmT1_T2_T3_mT4_P12ihipStream_tbEUlT_E0_NS1_11comp_targetILNS1_3genE4ELNS1_11target_archE910ELNS1_3gpuE8ELNS1_3repE0EEENS1_30default_config_static_selectorELNS0_4arch9wavefront6targetE0EEEvSP_.has_recursion, 0
	.set _ZN7rocprim17ROCPRIM_400000_NS6detail17trampoline_kernelINS0_14default_configENS1_22reduce_config_selectorImEEZNS1_11reduce_implILb1ES3_N6thrust23THRUST_200600_302600_NS11hip_rocprim35transform_pair_of_input_iterators_tImNS8_6detail15normal_iteratorINS8_10device_ptrIiEEEESF_NS8_12not_equal_toIiEEEEPmmNS8_4plusImEEEE10hipError_tPvRmT1_T2_T3_mT4_P12ihipStream_tbEUlT_E0_NS1_11comp_targetILNS1_3genE4ELNS1_11target_archE910ELNS1_3gpuE8ELNS1_3repE0EEENS1_30default_config_static_selectorELNS0_4arch9wavefront6targetE0EEEvSP_.has_indirect_call, 0
	.section	.AMDGPU.csdata,"",@progbits
; Kernel info:
; codeLenInByte = 0
; TotalNumSgprs: 0
; NumVgprs: 0
; ScratchSize: 0
; MemoryBound: 0
; FloatMode: 240
; IeeeMode: 1
; LDSByteSize: 0 bytes/workgroup (compile time only)
; SGPRBlocks: 0
; VGPRBlocks: 0
; NumSGPRsForWavesPerEU: 1
; NumVGPRsForWavesPerEU: 1
; Occupancy: 16
; WaveLimiterHint : 0
; COMPUTE_PGM_RSRC2:SCRATCH_EN: 0
; COMPUTE_PGM_RSRC2:USER_SGPR: 6
; COMPUTE_PGM_RSRC2:TRAP_HANDLER: 0
; COMPUTE_PGM_RSRC2:TGID_X_EN: 1
; COMPUTE_PGM_RSRC2:TGID_Y_EN: 0
; COMPUTE_PGM_RSRC2:TGID_Z_EN: 0
; COMPUTE_PGM_RSRC2:TIDIG_COMP_CNT: 0
	.section	.text._ZN7rocprim17ROCPRIM_400000_NS6detail17trampoline_kernelINS0_14default_configENS1_22reduce_config_selectorImEEZNS1_11reduce_implILb1ES3_N6thrust23THRUST_200600_302600_NS11hip_rocprim35transform_pair_of_input_iterators_tImNS8_6detail15normal_iteratorINS8_10device_ptrIiEEEESF_NS8_12not_equal_toIiEEEEPmmNS8_4plusImEEEE10hipError_tPvRmT1_T2_T3_mT4_P12ihipStream_tbEUlT_E0_NS1_11comp_targetILNS1_3genE3ELNS1_11target_archE908ELNS1_3gpuE7ELNS1_3repE0EEENS1_30default_config_static_selectorELNS0_4arch9wavefront6targetE0EEEvSP_,"axG",@progbits,_ZN7rocprim17ROCPRIM_400000_NS6detail17trampoline_kernelINS0_14default_configENS1_22reduce_config_selectorImEEZNS1_11reduce_implILb1ES3_N6thrust23THRUST_200600_302600_NS11hip_rocprim35transform_pair_of_input_iterators_tImNS8_6detail15normal_iteratorINS8_10device_ptrIiEEEESF_NS8_12not_equal_toIiEEEEPmmNS8_4plusImEEEE10hipError_tPvRmT1_T2_T3_mT4_P12ihipStream_tbEUlT_E0_NS1_11comp_targetILNS1_3genE3ELNS1_11target_archE908ELNS1_3gpuE7ELNS1_3repE0EEENS1_30default_config_static_selectorELNS0_4arch9wavefront6targetE0EEEvSP_,comdat
	.protected	_ZN7rocprim17ROCPRIM_400000_NS6detail17trampoline_kernelINS0_14default_configENS1_22reduce_config_selectorImEEZNS1_11reduce_implILb1ES3_N6thrust23THRUST_200600_302600_NS11hip_rocprim35transform_pair_of_input_iterators_tImNS8_6detail15normal_iteratorINS8_10device_ptrIiEEEESF_NS8_12not_equal_toIiEEEEPmmNS8_4plusImEEEE10hipError_tPvRmT1_T2_T3_mT4_P12ihipStream_tbEUlT_E0_NS1_11comp_targetILNS1_3genE3ELNS1_11target_archE908ELNS1_3gpuE7ELNS1_3repE0EEENS1_30default_config_static_selectorELNS0_4arch9wavefront6targetE0EEEvSP_ ; -- Begin function _ZN7rocprim17ROCPRIM_400000_NS6detail17trampoline_kernelINS0_14default_configENS1_22reduce_config_selectorImEEZNS1_11reduce_implILb1ES3_N6thrust23THRUST_200600_302600_NS11hip_rocprim35transform_pair_of_input_iterators_tImNS8_6detail15normal_iteratorINS8_10device_ptrIiEEEESF_NS8_12not_equal_toIiEEEEPmmNS8_4plusImEEEE10hipError_tPvRmT1_T2_T3_mT4_P12ihipStream_tbEUlT_E0_NS1_11comp_targetILNS1_3genE3ELNS1_11target_archE908ELNS1_3gpuE7ELNS1_3repE0EEENS1_30default_config_static_selectorELNS0_4arch9wavefront6targetE0EEEvSP_
	.globl	_ZN7rocprim17ROCPRIM_400000_NS6detail17trampoline_kernelINS0_14default_configENS1_22reduce_config_selectorImEEZNS1_11reduce_implILb1ES3_N6thrust23THRUST_200600_302600_NS11hip_rocprim35transform_pair_of_input_iterators_tImNS8_6detail15normal_iteratorINS8_10device_ptrIiEEEESF_NS8_12not_equal_toIiEEEEPmmNS8_4plusImEEEE10hipError_tPvRmT1_T2_T3_mT4_P12ihipStream_tbEUlT_E0_NS1_11comp_targetILNS1_3genE3ELNS1_11target_archE908ELNS1_3gpuE7ELNS1_3repE0EEENS1_30default_config_static_selectorELNS0_4arch9wavefront6targetE0EEEvSP_
	.p2align	8
	.type	_ZN7rocprim17ROCPRIM_400000_NS6detail17trampoline_kernelINS0_14default_configENS1_22reduce_config_selectorImEEZNS1_11reduce_implILb1ES3_N6thrust23THRUST_200600_302600_NS11hip_rocprim35transform_pair_of_input_iterators_tImNS8_6detail15normal_iteratorINS8_10device_ptrIiEEEESF_NS8_12not_equal_toIiEEEEPmmNS8_4plusImEEEE10hipError_tPvRmT1_T2_T3_mT4_P12ihipStream_tbEUlT_E0_NS1_11comp_targetILNS1_3genE3ELNS1_11target_archE908ELNS1_3gpuE7ELNS1_3repE0EEENS1_30default_config_static_selectorELNS0_4arch9wavefront6targetE0EEEvSP_,@function
_ZN7rocprim17ROCPRIM_400000_NS6detail17trampoline_kernelINS0_14default_configENS1_22reduce_config_selectorImEEZNS1_11reduce_implILb1ES3_N6thrust23THRUST_200600_302600_NS11hip_rocprim35transform_pair_of_input_iterators_tImNS8_6detail15normal_iteratorINS8_10device_ptrIiEEEESF_NS8_12not_equal_toIiEEEEPmmNS8_4plusImEEEE10hipError_tPvRmT1_T2_T3_mT4_P12ihipStream_tbEUlT_E0_NS1_11comp_targetILNS1_3genE3ELNS1_11target_archE908ELNS1_3gpuE7ELNS1_3repE0EEENS1_30default_config_static_selectorELNS0_4arch9wavefront6targetE0EEEvSP_: ; @_ZN7rocprim17ROCPRIM_400000_NS6detail17trampoline_kernelINS0_14default_configENS1_22reduce_config_selectorImEEZNS1_11reduce_implILb1ES3_N6thrust23THRUST_200600_302600_NS11hip_rocprim35transform_pair_of_input_iterators_tImNS8_6detail15normal_iteratorINS8_10device_ptrIiEEEESF_NS8_12not_equal_toIiEEEEPmmNS8_4plusImEEEE10hipError_tPvRmT1_T2_T3_mT4_P12ihipStream_tbEUlT_E0_NS1_11comp_targetILNS1_3genE3ELNS1_11target_archE908ELNS1_3gpuE7ELNS1_3repE0EEENS1_30default_config_static_selectorELNS0_4arch9wavefront6targetE0EEEvSP_
; %bb.0:
	.section	.rodata,"a",@progbits
	.p2align	6, 0x0
	.amdhsa_kernel _ZN7rocprim17ROCPRIM_400000_NS6detail17trampoline_kernelINS0_14default_configENS1_22reduce_config_selectorImEEZNS1_11reduce_implILb1ES3_N6thrust23THRUST_200600_302600_NS11hip_rocprim35transform_pair_of_input_iterators_tImNS8_6detail15normal_iteratorINS8_10device_ptrIiEEEESF_NS8_12not_equal_toIiEEEEPmmNS8_4plusImEEEE10hipError_tPvRmT1_T2_T3_mT4_P12ihipStream_tbEUlT_E0_NS1_11comp_targetILNS1_3genE3ELNS1_11target_archE908ELNS1_3gpuE7ELNS1_3repE0EEENS1_30default_config_static_selectorELNS0_4arch9wavefront6targetE0EEEvSP_
		.amdhsa_group_segment_fixed_size 0
		.amdhsa_private_segment_fixed_size 0
		.amdhsa_kernarg_size 80
		.amdhsa_user_sgpr_count 6
		.amdhsa_user_sgpr_private_segment_buffer 1
		.amdhsa_user_sgpr_dispatch_ptr 0
		.amdhsa_user_sgpr_queue_ptr 0
		.amdhsa_user_sgpr_kernarg_segment_ptr 1
		.amdhsa_user_sgpr_dispatch_id 0
		.amdhsa_user_sgpr_flat_scratch_init 0
		.amdhsa_user_sgpr_private_segment_size 0
		.amdhsa_wavefront_size32 1
		.amdhsa_uses_dynamic_stack 0
		.amdhsa_system_sgpr_private_segment_wavefront_offset 0
		.amdhsa_system_sgpr_workgroup_id_x 1
		.amdhsa_system_sgpr_workgroup_id_y 0
		.amdhsa_system_sgpr_workgroup_id_z 0
		.amdhsa_system_sgpr_workgroup_info 0
		.amdhsa_system_vgpr_workitem_id 0
		.amdhsa_next_free_vgpr 1
		.amdhsa_next_free_sgpr 1
		.amdhsa_reserve_vcc 0
		.amdhsa_reserve_flat_scratch 0
		.amdhsa_float_round_mode_32 0
		.amdhsa_float_round_mode_16_64 0
		.amdhsa_float_denorm_mode_32 3
		.amdhsa_float_denorm_mode_16_64 3
		.amdhsa_dx10_clamp 1
		.amdhsa_ieee_mode 1
		.amdhsa_fp16_overflow 0
		.amdhsa_workgroup_processor_mode 1
		.amdhsa_memory_ordered 1
		.amdhsa_forward_progress 1
		.amdhsa_shared_vgpr_count 0
		.amdhsa_exception_fp_ieee_invalid_op 0
		.amdhsa_exception_fp_denorm_src 0
		.amdhsa_exception_fp_ieee_div_zero 0
		.amdhsa_exception_fp_ieee_overflow 0
		.amdhsa_exception_fp_ieee_underflow 0
		.amdhsa_exception_fp_ieee_inexact 0
		.amdhsa_exception_int_div_zero 0
	.end_amdhsa_kernel
	.section	.text._ZN7rocprim17ROCPRIM_400000_NS6detail17trampoline_kernelINS0_14default_configENS1_22reduce_config_selectorImEEZNS1_11reduce_implILb1ES3_N6thrust23THRUST_200600_302600_NS11hip_rocprim35transform_pair_of_input_iterators_tImNS8_6detail15normal_iteratorINS8_10device_ptrIiEEEESF_NS8_12not_equal_toIiEEEEPmmNS8_4plusImEEEE10hipError_tPvRmT1_T2_T3_mT4_P12ihipStream_tbEUlT_E0_NS1_11comp_targetILNS1_3genE3ELNS1_11target_archE908ELNS1_3gpuE7ELNS1_3repE0EEENS1_30default_config_static_selectorELNS0_4arch9wavefront6targetE0EEEvSP_,"axG",@progbits,_ZN7rocprim17ROCPRIM_400000_NS6detail17trampoline_kernelINS0_14default_configENS1_22reduce_config_selectorImEEZNS1_11reduce_implILb1ES3_N6thrust23THRUST_200600_302600_NS11hip_rocprim35transform_pair_of_input_iterators_tImNS8_6detail15normal_iteratorINS8_10device_ptrIiEEEESF_NS8_12not_equal_toIiEEEEPmmNS8_4plusImEEEE10hipError_tPvRmT1_T2_T3_mT4_P12ihipStream_tbEUlT_E0_NS1_11comp_targetILNS1_3genE3ELNS1_11target_archE908ELNS1_3gpuE7ELNS1_3repE0EEENS1_30default_config_static_selectorELNS0_4arch9wavefront6targetE0EEEvSP_,comdat
.Lfunc_end41:
	.size	_ZN7rocprim17ROCPRIM_400000_NS6detail17trampoline_kernelINS0_14default_configENS1_22reduce_config_selectorImEEZNS1_11reduce_implILb1ES3_N6thrust23THRUST_200600_302600_NS11hip_rocprim35transform_pair_of_input_iterators_tImNS8_6detail15normal_iteratorINS8_10device_ptrIiEEEESF_NS8_12not_equal_toIiEEEEPmmNS8_4plusImEEEE10hipError_tPvRmT1_T2_T3_mT4_P12ihipStream_tbEUlT_E0_NS1_11comp_targetILNS1_3genE3ELNS1_11target_archE908ELNS1_3gpuE7ELNS1_3repE0EEENS1_30default_config_static_selectorELNS0_4arch9wavefront6targetE0EEEvSP_, .Lfunc_end41-_ZN7rocprim17ROCPRIM_400000_NS6detail17trampoline_kernelINS0_14default_configENS1_22reduce_config_selectorImEEZNS1_11reduce_implILb1ES3_N6thrust23THRUST_200600_302600_NS11hip_rocprim35transform_pair_of_input_iterators_tImNS8_6detail15normal_iteratorINS8_10device_ptrIiEEEESF_NS8_12not_equal_toIiEEEEPmmNS8_4plusImEEEE10hipError_tPvRmT1_T2_T3_mT4_P12ihipStream_tbEUlT_E0_NS1_11comp_targetILNS1_3genE3ELNS1_11target_archE908ELNS1_3gpuE7ELNS1_3repE0EEENS1_30default_config_static_selectorELNS0_4arch9wavefront6targetE0EEEvSP_
                                        ; -- End function
	.set _ZN7rocprim17ROCPRIM_400000_NS6detail17trampoline_kernelINS0_14default_configENS1_22reduce_config_selectorImEEZNS1_11reduce_implILb1ES3_N6thrust23THRUST_200600_302600_NS11hip_rocprim35transform_pair_of_input_iterators_tImNS8_6detail15normal_iteratorINS8_10device_ptrIiEEEESF_NS8_12not_equal_toIiEEEEPmmNS8_4plusImEEEE10hipError_tPvRmT1_T2_T3_mT4_P12ihipStream_tbEUlT_E0_NS1_11comp_targetILNS1_3genE3ELNS1_11target_archE908ELNS1_3gpuE7ELNS1_3repE0EEENS1_30default_config_static_selectorELNS0_4arch9wavefront6targetE0EEEvSP_.num_vgpr, 0
	.set _ZN7rocprim17ROCPRIM_400000_NS6detail17trampoline_kernelINS0_14default_configENS1_22reduce_config_selectorImEEZNS1_11reduce_implILb1ES3_N6thrust23THRUST_200600_302600_NS11hip_rocprim35transform_pair_of_input_iterators_tImNS8_6detail15normal_iteratorINS8_10device_ptrIiEEEESF_NS8_12not_equal_toIiEEEEPmmNS8_4plusImEEEE10hipError_tPvRmT1_T2_T3_mT4_P12ihipStream_tbEUlT_E0_NS1_11comp_targetILNS1_3genE3ELNS1_11target_archE908ELNS1_3gpuE7ELNS1_3repE0EEENS1_30default_config_static_selectorELNS0_4arch9wavefront6targetE0EEEvSP_.num_agpr, 0
	.set _ZN7rocprim17ROCPRIM_400000_NS6detail17trampoline_kernelINS0_14default_configENS1_22reduce_config_selectorImEEZNS1_11reduce_implILb1ES3_N6thrust23THRUST_200600_302600_NS11hip_rocprim35transform_pair_of_input_iterators_tImNS8_6detail15normal_iteratorINS8_10device_ptrIiEEEESF_NS8_12not_equal_toIiEEEEPmmNS8_4plusImEEEE10hipError_tPvRmT1_T2_T3_mT4_P12ihipStream_tbEUlT_E0_NS1_11comp_targetILNS1_3genE3ELNS1_11target_archE908ELNS1_3gpuE7ELNS1_3repE0EEENS1_30default_config_static_selectorELNS0_4arch9wavefront6targetE0EEEvSP_.numbered_sgpr, 0
	.set _ZN7rocprim17ROCPRIM_400000_NS6detail17trampoline_kernelINS0_14default_configENS1_22reduce_config_selectorImEEZNS1_11reduce_implILb1ES3_N6thrust23THRUST_200600_302600_NS11hip_rocprim35transform_pair_of_input_iterators_tImNS8_6detail15normal_iteratorINS8_10device_ptrIiEEEESF_NS8_12not_equal_toIiEEEEPmmNS8_4plusImEEEE10hipError_tPvRmT1_T2_T3_mT4_P12ihipStream_tbEUlT_E0_NS1_11comp_targetILNS1_3genE3ELNS1_11target_archE908ELNS1_3gpuE7ELNS1_3repE0EEENS1_30default_config_static_selectorELNS0_4arch9wavefront6targetE0EEEvSP_.num_named_barrier, 0
	.set _ZN7rocprim17ROCPRIM_400000_NS6detail17trampoline_kernelINS0_14default_configENS1_22reduce_config_selectorImEEZNS1_11reduce_implILb1ES3_N6thrust23THRUST_200600_302600_NS11hip_rocprim35transform_pair_of_input_iterators_tImNS8_6detail15normal_iteratorINS8_10device_ptrIiEEEESF_NS8_12not_equal_toIiEEEEPmmNS8_4plusImEEEE10hipError_tPvRmT1_T2_T3_mT4_P12ihipStream_tbEUlT_E0_NS1_11comp_targetILNS1_3genE3ELNS1_11target_archE908ELNS1_3gpuE7ELNS1_3repE0EEENS1_30default_config_static_selectorELNS0_4arch9wavefront6targetE0EEEvSP_.private_seg_size, 0
	.set _ZN7rocprim17ROCPRIM_400000_NS6detail17trampoline_kernelINS0_14default_configENS1_22reduce_config_selectorImEEZNS1_11reduce_implILb1ES3_N6thrust23THRUST_200600_302600_NS11hip_rocprim35transform_pair_of_input_iterators_tImNS8_6detail15normal_iteratorINS8_10device_ptrIiEEEESF_NS8_12not_equal_toIiEEEEPmmNS8_4plusImEEEE10hipError_tPvRmT1_T2_T3_mT4_P12ihipStream_tbEUlT_E0_NS1_11comp_targetILNS1_3genE3ELNS1_11target_archE908ELNS1_3gpuE7ELNS1_3repE0EEENS1_30default_config_static_selectorELNS0_4arch9wavefront6targetE0EEEvSP_.uses_vcc, 0
	.set _ZN7rocprim17ROCPRIM_400000_NS6detail17trampoline_kernelINS0_14default_configENS1_22reduce_config_selectorImEEZNS1_11reduce_implILb1ES3_N6thrust23THRUST_200600_302600_NS11hip_rocprim35transform_pair_of_input_iterators_tImNS8_6detail15normal_iteratorINS8_10device_ptrIiEEEESF_NS8_12not_equal_toIiEEEEPmmNS8_4plusImEEEE10hipError_tPvRmT1_T2_T3_mT4_P12ihipStream_tbEUlT_E0_NS1_11comp_targetILNS1_3genE3ELNS1_11target_archE908ELNS1_3gpuE7ELNS1_3repE0EEENS1_30default_config_static_selectorELNS0_4arch9wavefront6targetE0EEEvSP_.uses_flat_scratch, 0
	.set _ZN7rocprim17ROCPRIM_400000_NS6detail17trampoline_kernelINS0_14default_configENS1_22reduce_config_selectorImEEZNS1_11reduce_implILb1ES3_N6thrust23THRUST_200600_302600_NS11hip_rocprim35transform_pair_of_input_iterators_tImNS8_6detail15normal_iteratorINS8_10device_ptrIiEEEESF_NS8_12not_equal_toIiEEEEPmmNS8_4plusImEEEE10hipError_tPvRmT1_T2_T3_mT4_P12ihipStream_tbEUlT_E0_NS1_11comp_targetILNS1_3genE3ELNS1_11target_archE908ELNS1_3gpuE7ELNS1_3repE0EEENS1_30default_config_static_selectorELNS0_4arch9wavefront6targetE0EEEvSP_.has_dyn_sized_stack, 0
	.set _ZN7rocprim17ROCPRIM_400000_NS6detail17trampoline_kernelINS0_14default_configENS1_22reduce_config_selectorImEEZNS1_11reduce_implILb1ES3_N6thrust23THRUST_200600_302600_NS11hip_rocprim35transform_pair_of_input_iterators_tImNS8_6detail15normal_iteratorINS8_10device_ptrIiEEEESF_NS8_12not_equal_toIiEEEEPmmNS8_4plusImEEEE10hipError_tPvRmT1_T2_T3_mT4_P12ihipStream_tbEUlT_E0_NS1_11comp_targetILNS1_3genE3ELNS1_11target_archE908ELNS1_3gpuE7ELNS1_3repE0EEENS1_30default_config_static_selectorELNS0_4arch9wavefront6targetE0EEEvSP_.has_recursion, 0
	.set _ZN7rocprim17ROCPRIM_400000_NS6detail17trampoline_kernelINS0_14default_configENS1_22reduce_config_selectorImEEZNS1_11reduce_implILb1ES3_N6thrust23THRUST_200600_302600_NS11hip_rocprim35transform_pair_of_input_iterators_tImNS8_6detail15normal_iteratorINS8_10device_ptrIiEEEESF_NS8_12not_equal_toIiEEEEPmmNS8_4plusImEEEE10hipError_tPvRmT1_T2_T3_mT4_P12ihipStream_tbEUlT_E0_NS1_11comp_targetILNS1_3genE3ELNS1_11target_archE908ELNS1_3gpuE7ELNS1_3repE0EEENS1_30default_config_static_selectorELNS0_4arch9wavefront6targetE0EEEvSP_.has_indirect_call, 0
	.section	.AMDGPU.csdata,"",@progbits
; Kernel info:
; codeLenInByte = 0
; TotalNumSgprs: 0
; NumVgprs: 0
; ScratchSize: 0
; MemoryBound: 0
; FloatMode: 240
; IeeeMode: 1
; LDSByteSize: 0 bytes/workgroup (compile time only)
; SGPRBlocks: 0
; VGPRBlocks: 0
; NumSGPRsForWavesPerEU: 1
; NumVGPRsForWavesPerEU: 1
; Occupancy: 16
; WaveLimiterHint : 0
; COMPUTE_PGM_RSRC2:SCRATCH_EN: 0
; COMPUTE_PGM_RSRC2:USER_SGPR: 6
; COMPUTE_PGM_RSRC2:TRAP_HANDLER: 0
; COMPUTE_PGM_RSRC2:TGID_X_EN: 1
; COMPUTE_PGM_RSRC2:TGID_Y_EN: 0
; COMPUTE_PGM_RSRC2:TGID_Z_EN: 0
; COMPUTE_PGM_RSRC2:TIDIG_COMP_CNT: 0
	.section	.text._ZN7rocprim17ROCPRIM_400000_NS6detail17trampoline_kernelINS0_14default_configENS1_22reduce_config_selectorImEEZNS1_11reduce_implILb1ES3_N6thrust23THRUST_200600_302600_NS11hip_rocprim35transform_pair_of_input_iterators_tImNS8_6detail15normal_iteratorINS8_10device_ptrIiEEEESF_NS8_12not_equal_toIiEEEEPmmNS8_4plusImEEEE10hipError_tPvRmT1_T2_T3_mT4_P12ihipStream_tbEUlT_E0_NS1_11comp_targetILNS1_3genE2ELNS1_11target_archE906ELNS1_3gpuE6ELNS1_3repE0EEENS1_30default_config_static_selectorELNS0_4arch9wavefront6targetE0EEEvSP_,"axG",@progbits,_ZN7rocprim17ROCPRIM_400000_NS6detail17trampoline_kernelINS0_14default_configENS1_22reduce_config_selectorImEEZNS1_11reduce_implILb1ES3_N6thrust23THRUST_200600_302600_NS11hip_rocprim35transform_pair_of_input_iterators_tImNS8_6detail15normal_iteratorINS8_10device_ptrIiEEEESF_NS8_12not_equal_toIiEEEEPmmNS8_4plusImEEEE10hipError_tPvRmT1_T2_T3_mT4_P12ihipStream_tbEUlT_E0_NS1_11comp_targetILNS1_3genE2ELNS1_11target_archE906ELNS1_3gpuE6ELNS1_3repE0EEENS1_30default_config_static_selectorELNS0_4arch9wavefront6targetE0EEEvSP_,comdat
	.protected	_ZN7rocprim17ROCPRIM_400000_NS6detail17trampoline_kernelINS0_14default_configENS1_22reduce_config_selectorImEEZNS1_11reduce_implILb1ES3_N6thrust23THRUST_200600_302600_NS11hip_rocprim35transform_pair_of_input_iterators_tImNS8_6detail15normal_iteratorINS8_10device_ptrIiEEEESF_NS8_12not_equal_toIiEEEEPmmNS8_4plusImEEEE10hipError_tPvRmT1_T2_T3_mT4_P12ihipStream_tbEUlT_E0_NS1_11comp_targetILNS1_3genE2ELNS1_11target_archE906ELNS1_3gpuE6ELNS1_3repE0EEENS1_30default_config_static_selectorELNS0_4arch9wavefront6targetE0EEEvSP_ ; -- Begin function _ZN7rocprim17ROCPRIM_400000_NS6detail17trampoline_kernelINS0_14default_configENS1_22reduce_config_selectorImEEZNS1_11reduce_implILb1ES3_N6thrust23THRUST_200600_302600_NS11hip_rocprim35transform_pair_of_input_iterators_tImNS8_6detail15normal_iteratorINS8_10device_ptrIiEEEESF_NS8_12not_equal_toIiEEEEPmmNS8_4plusImEEEE10hipError_tPvRmT1_T2_T3_mT4_P12ihipStream_tbEUlT_E0_NS1_11comp_targetILNS1_3genE2ELNS1_11target_archE906ELNS1_3gpuE6ELNS1_3repE0EEENS1_30default_config_static_selectorELNS0_4arch9wavefront6targetE0EEEvSP_
	.globl	_ZN7rocprim17ROCPRIM_400000_NS6detail17trampoline_kernelINS0_14default_configENS1_22reduce_config_selectorImEEZNS1_11reduce_implILb1ES3_N6thrust23THRUST_200600_302600_NS11hip_rocprim35transform_pair_of_input_iterators_tImNS8_6detail15normal_iteratorINS8_10device_ptrIiEEEESF_NS8_12not_equal_toIiEEEEPmmNS8_4plusImEEEE10hipError_tPvRmT1_T2_T3_mT4_P12ihipStream_tbEUlT_E0_NS1_11comp_targetILNS1_3genE2ELNS1_11target_archE906ELNS1_3gpuE6ELNS1_3repE0EEENS1_30default_config_static_selectorELNS0_4arch9wavefront6targetE0EEEvSP_
	.p2align	8
	.type	_ZN7rocprim17ROCPRIM_400000_NS6detail17trampoline_kernelINS0_14default_configENS1_22reduce_config_selectorImEEZNS1_11reduce_implILb1ES3_N6thrust23THRUST_200600_302600_NS11hip_rocprim35transform_pair_of_input_iterators_tImNS8_6detail15normal_iteratorINS8_10device_ptrIiEEEESF_NS8_12not_equal_toIiEEEEPmmNS8_4plusImEEEE10hipError_tPvRmT1_T2_T3_mT4_P12ihipStream_tbEUlT_E0_NS1_11comp_targetILNS1_3genE2ELNS1_11target_archE906ELNS1_3gpuE6ELNS1_3repE0EEENS1_30default_config_static_selectorELNS0_4arch9wavefront6targetE0EEEvSP_,@function
_ZN7rocprim17ROCPRIM_400000_NS6detail17trampoline_kernelINS0_14default_configENS1_22reduce_config_selectorImEEZNS1_11reduce_implILb1ES3_N6thrust23THRUST_200600_302600_NS11hip_rocprim35transform_pair_of_input_iterators_tImNS8_6detail15normal_iteratorINS8_10device_ptrIiEEEESF_NS8_12not_equal_toIiEEEEPmmNS8_4plusImEEEE10hipError_tPvRmT1_T2_T3_mT4_P12ihipStream_tbEUlT_E0_NS1_11comp_targetILNS1_3genE2ELNS1_11target_archE906ELNS1_3gpuE6ELNS1_3repE0EEENS1_30default_config_static_selectorELNS0_4arch9wavefront6targetE0EEEvSP_: ; @_ZN7rocprim17ROCPRIM_400000_NS6detail17trampoline_kernelINS0_14default_configENS1_22reduce_config_selectorImEEZNS1_11reduce_implILb1ES3_N6thrust23THRUST_200600_302600_NS11hip_rocprim35transform_pair_of_input_iterators_tImNS8_6detail15normal_iteratorINS8_10device_ptrIiEEEESF_NS8_12not_equal_toIiEEEEPmmNS8_4plusImEEEE10hipError_tPvRmT1_T2_T3_mT4_P12ihipStream_tbEUlT_E0_NS1_11comp_targetILNS1_3genE2ELNS1_11target_archE906ELNS1_3gpuE6ELNS1_3repE0EEENS1_30default_config_static_selectorELNS0_4arch9wavefront6targetE0EEEvSP_
; %bb.0:
	.section	.rodata,"a",@progbits
	.p2align	6, 0x0
	.amdhsa_kernel _ZN7rocprim17ROCPRIM_400000_NS6detail17trampoline_kernelINS0_14default_configENS1_22reduce_config_selectorImEEZNS1_11reduce_implILb1ES3_N6thrust23THRUST_200600_302600_NS11hip_rocprim35transform_pair_of_input_iterators_tImNS8_6detail15normal_iteratorINS8_10device_ptrIiEEEESF_NS8_12not_equal_toIiEEEEPmmNS8_4plusImEEEE10hipError_tPvRmT1_T2_T3_mT4_P12ihipStream_tbEUlT_E0_NS1_11comp_targetILNS1_3genE2ELNS1_11target_archE906ELNS1_3gpuE6ELNS1_3repE0EEENS1_30default_config_static_selectorELNS0_4arch9wavefront6targetE0EEEvSP_
		.amdhsa_group_segment_fixed_size 0
		.amdhsa_private_segment_fixed_size 0
		.amdhsa_kernarg_size 80
		.amdhsa_user_sgpr_count 6
		.amdhsa_user_sgpr_private_segment_buffer 1
		.amdhsa_user_sgpr_dispatch_ptr 0
		.amdhsa_user_sgpr_queue_ptr 0
		.amdhsa_user_sgpr_kernarg_segment_ptr 1
		.amdhsa_user_sgpr_dispatch_id 0
		.amdhsa_user_sgpr_flat_scratch_init 0
		.amdhsa_user_sgpr_private_segment_size 0
		.amdhsa_wavefront_size32 1
		.amdhsa_uses_dynamic_stack 0
		.amdhsa_system_sgpr_private_segment_wavefront_offset 0
		.amdhsa_system_sgpr_workgroup_id_x 1
		.amdhsa_system_sgpr_workgroup_id_y 0
		.amdhsa_system_sgpr_workgroup_id_z 0
		.amdhsa_system_sgpr_workgroup_info 0
		.amdhsa_system_vgpr_workitem_id 0
		.amdhsa_next_free_vgpr 1
		.amdhsa_next_free_sgpr 1
		.amdhsa_reserve_vcc 0
		.amdhsa_reserve_flat_scratch 0
		.amdhsa_float_round_mode_32 0
		.amdhsa_float_round_mode_16_64 0
		.amdhsa_float_denorm_mode_32 3
		.amdhsa_float_denorm_mode_16_64 3
		.amdhsa_dx10_clamp 1
		.amdhsa_ieee_mode 1
		.amdhsa_fp16_overflow 0
		.amdhsa_workgroup_processor_mode 1
		.amdhsa_memory_ordered 1
		.amdhsa_forward_progress 1
		.amdhsa_shared_vgpr_count 0
		.amdhsa_exception_fp_ieee_invalid_op 0
		.amdhsa_exception_fp_denorm_src 0
		.amdhsa_exception_fp_ieee_div_zero 0
		.amdhsa_exception_fp_ieee_overflow 0
		.amdhsa_exception_fp_ieee_underflow 0
		.amdhsa_exception_fp_ieee_inexact 0
		.amdhsa_exception_int_div_zero 0
	.end_amdhsa_kernel
	.section	.text._ZN7rocprim17ROCPRIM_400000_NS6detail17trampoline_kernelINS0_14default_configENS1_22reduce_config_selectorImEEZNS1_11reduce_implILb1ES3_N6thrust23THRUST_200600_302600_NS11hip_rocprim35transform_pair_of_input_iterators_tImNS8_6detail15normal_iteratorINS8_10device_ptrIiEEEESF_NS8_12not_equal_toIiEEEEPmmNS8_4plusImEEEE10hipError_tPvRmT1_T2_T3_mT4_P12ihipStream_tbEUlT_E0_NS1_11comp_targetILNS1_3genE2ELNS1_11target_archE906ELNS1_3gpuE6ELNS1_3repE0EEENS1_30default_config_static_selectorELNS0_4arch9wavefront6targetE0EEEvSP_,"axG",@progbits,_ZN7rocprim17ROCPRIM_400000_NS6detail17trampoline_kernelINS0_14default_configENS1_22reduce_config_selectorImEEZNS1_11reduce_implILb1ES3_N6thrust23THRUST_200600_302600_NS11hip_rocprim35transform_pair_of_input_iterators_tImNS8_6detail15normal_iteratorINS8_10device_ptrIiEEEESF_NS8_12not_equal_toIiEEEEPmmNS8_4plusImEEEE10hipError_tPvRmT1_T2_T3_mT4_P12ihipStream_tbEUlT_E0_NS1_11comp_targetILNS1_3genE2ELNS1_11target_archE906ELNS1_3gpuE6ELNS1_3repE0EEENS1_30default_config_static_selectorELNS0_4arch9wavefront6targetE0EEEvSP_,comdat
.Lfunc_end42:
	.size	_ZN7rocprim17ROCPRIM_400000_NS6detail17trampoline_kernelINS0_14default_configENS1_22reduce_config_selectorImEEZNS1_11reduce_implILb1ES3_N6thrust23THRUST_200600_302600_NS11hip_rocprim35transform_pair_of_input_iterators_tImNS8_6detail15normal_iteratorINS8_10device_ptrIiEEEESF_NS8_12not_equal_toIiEEEEPmmNS8_4plusImEEEE10hipError_tPvRmT1_T2_T3_mT4_P12ihipStream_tbEUlT_E0_NS1_11comp_targetILNS1_3genE2ELNS1_11target_archE906ELNS1_3gpuE6ELNS1_3repE0EEENS1_30default_config_static_selectorELNS0_4arch9wavefront6targetE0EEEvSP_, .Lfunc_end42-_ZN7rocprim17ROCPRIM_400000_NS6detail17trampoline_kernelINS0_14default_configENS1_22reduce_config_selectorImEEZNS1_11reduce_implILb1ES3_N6thrust23THRUST_200600_302600_NS11hip_rocprim35transform_pair_of_input_iterators_tImNS8_6detail15normal_iteratorINS8_10device_ptrIiEEEESF_NS8_12not_equal_toIiEEEEPmmNS8_4plusImEEEE10hipError_tPvRmT1_T2_T3_mT4_P12ihipStream_tbEUlT_E0_NS1_11comp_targetILNS1_3genE2ELNS1_11target_archE906ELNS1_3gpuE6ELNS1_3repE0EEENS1_30default_config_static_selectorELNS0_4arch9wavefront6targetE0EEEvSP_
                                        ; -- End function
	.set _ZN7rocprim17ROCPRIM_400000_NS6detail17trampoline_kernelINS0_14default_configENS1_22reduce_config_selectorImEEZNS1_11reduce_implILb1ES3_N6thrust23THRUST_200600_302600_NS11hip_rocprim35transform_pair_of_input_iterators_tImNS8_6detail15normal_iteratorINS8_10device_ptrIiEEEESF_NS8_12not_equal_toIiEEEEPmmNS8_4plusImEEEE10hipError_tPvRmT1_T2_T3_mT4_P12ihipStream_tbEUlT_E0_NS1_11comp_targetILNS1_3genE2ELNS1_11target_archE906ELNS1_3gpuE6ELNS1_3repE0EEENS1_30default_config_static_selectorELNS0_4arch9wavefront6targetE0EEEvSP_.num_vgpr, 0
	.set _ZN7rocprim17ROCPRIM_400000_NS6detail17trampoline_kernelINS0_14default_configENS1_22reduce_config_selectorImEEZNS1_11reduce_implILb1ES3_N6thrust23THRUST_200600_302600_NS11hip_rocprim35transform_pair_of_input_iterators_tImNS8_6detail15normal_iteratorINS8_10device_ptrIiEEEESF_NS8_12not_equal_toIiEEEEPmmNS8_4plusImEEEE10hipError_tPvRmT1_T2_T3_mT4_P12ihipStream_tbEUlT_E0_NS1_11comp_targetILNS1_3genE2ELNS1_11target_archE906ELNS1_3gpuE6ELNS1_3repE0EEENS1_30default_config_static_selectorELNS0_4arch9wavefront6targetE0EEEvSP_.num_agpr, 0
	.set _ZN7rocprim17ROCPRIM_400000_NS6detail17trampoline_kernelINS0_14default_configENS1_22reduce_config_selectorImEEZNS1_11reduce_implILb1ES3_N6thrust23THRUST_200600_302600_NS11hip_rocprim35transform_pair_of_input_iterators_tImNS8_6detail15normal_iteratorINS8_10device_ptrIiEEEESF_NS8_12not_equal_toIiEEEEPmmNS8_4plusImEEEE10hipError_tPvRmT1_T2_T3_mT4_P12ihipStream_tbEUlT_E0_NS1_11comp_targetILNS1_3genE2ELNS1_11target_archE906ELNS1_3gpuE6ELNS1_3repE0EEENS1_30default_config_static_selectorELNS0_4arch9wavefront6targetE0EEEvSP_.numbered_sgpr, 0
	.set _ZN7rocprim17ROCPRIM_400000_NS6detail17trampoline_kernelINS0_14default_configENS1_22reduce_config_selectorImEEZNS1_11reduce_implILb1ES3_N6thrust23THRUST_200600_302600_NS11hip_rocprim35transform_pair_of_input_iterators_tImNS8_6detail15normal_iteratorINS8_10device_ptrIiEEEESF_NS8_12not_equal_toIiEEEEPmmNS8_4plusImEEEE10hipError_tPvRmT1_T2_T3_mT4_P12ihipStream_tbEUlT_E0_NS1_11comp_targetILNS1_3genE2ELNS1_11target_archE906ELNS1_3gpuE6ELNS1_3repE0EEENS1_30default_config_static_selectorELNS0_4arch9wavefront6targetE0EEEvSP_.num_named_barrier, 0
	.set _ZN7rocprim17ROCPRIM_400000_NS6detail17trampoline_kernelINS0_14default_configENS1_22reduce_config_selectorImEEZNS1_11reduce_implILb1ES3_N6thrust23THRUST_200600_302600_NS11hip_rocprim35transform_pair_of_input_iterators_tImNS8_6detail15normal_iteratorINS8_10device_ptrIiEEEESF_NS8_12not_equal_toIiEEEEPmmNS8_4plusImEEEE10hipError_tPvRmT1_T2_T3_mT4_P12ihipStream_tbEUlT_E0_NS1_11comp_targetILNS1_3genE2ELNS1_11target_archE906ELNS1_3gpuE6ELNS1_3repE0EEENS1_30default_config_static_selectorELNS0_4arch9wavefront6targetE0EEEvSP_.private_seg_size, 0
	.set _ZN7rocprim17ROCPRIM_400000_NS6detail17trampoline_kernelINS0_14default_configENS1_22reduce_config_selectorImEEZNS1_11reduce_implILb1ES3_N6thrust23THRUST_200600_302600_NS11hip_rocprim35transform_pair_of_input_iterators_tImNS8_6detail15normal_iteratorINS8_10device_ptrIiEEEESF_NS8_12not_equal_toIiEEEEPmmNS8_4plusImEEEE10hipError_tPvRmT1_T2_T3_mT4_P12ihipStream_tbEUlT_E0_NS1_11comp_targetILNS1_3genE2ELNS1_11target_archE906ELNS1_3gpuE6ELNS1_3repE0EEENS1_30default_config_static_selectorELNS0_4arch9wavefront6targetE0EEEvSP_.uses_vcc, 0
	.set _ZN7rocprim17ROCPRIM_400000_NS6detail17trampoline_kernelINS0_14default_configENS1_22reduce_config_selectorImEEZNS1_11reduce_implILb1ES3_N6thrust23THRUST_200600_302600_NS11hip_rocprim35transform_pair_of_input_iterators_tImNS8_6detail15normal_iteratorINS8_10device_ptrIiEEEESF_NS8_12not_equal_toIiEEEEPmmNS8_4plusImEEEE10hipError_tPvRmT1_T2_T3_mT4_P12ihipStream_tbEUlT_E0_NS1_11comp_targetILNS1_3genE2ELNS1_11target_archE906ELNS1_3gpuE6ELNS1_3repE0EEENS1_30default_config_static_selectorELNS0_4arch9wavefront6targetE0EEEvSP_.uses_flat_scratch, 0
	.set _ZN7rocprim17ROCPRIM_400000_NS6detail17trampoline_kernelINS0_14default_configENS1_22reduce_config_selectorImEEZNS1_11reduce_implILb1ES3_N6thrust23THRUST_200600_302600_NS11hip_rocprim35transform_pair_of_input_iterators_tImNS8_6detail15normal_iteratorINS8_10device_ptrIiEEEESF_NS8_12not_equal_toIiEEEEPmmNS8_4plusImEEEE10hipError_tPvRmT1_T2_T3_mT4_P12ihipStream_tbEUlT_E0_NS1_11comp_targetILNS1_3genE2ELNS1_11target_archE906ELNS1_3gpuE6ELNS1_3repE0EEENS1_30default_config_static_selectorELNS0_4arch9wavefront6targetE0EEEvSP_.has_dyn_sized_stack, 0
	.set _ZN7rocprim17ROCPRIM_400000_NS6detail17trampoline_kernelINS0_14default_configENS1_22reduce_config_selectorImEEZNS1_11reduce_implILb1ES3_N6thrust23THRUST_200600_302600_NS11hip_rocprim35transform_pair_of_input_iterators_tImNS8_6detail15normal_iteratorINS8_10device_ptrIiEEEESF_NS8_12not_equal_toIiEEEEPmmNS8_4plusImEEEE10hipError_tPvRmT1_T2_T3_mT4_P12ihipStream_tbEUlT_E0_NS1_11comp_targetILNS1_3genE2ELNS1_11target_archE906ELNS1_3gpuE6ELNS1_3repE0EEENS1_30default_config_static_selectorELNS0_4arch9wavefront6targetE0EEEvSP_.has_recursion, 0
	.set _ZN7rocprim17ROCPRIM_400000_NS6detail17trampoline_kernelINS0_14default_configENS1_22reduce_config_selectorImEEZNS1_11reduce_implILb1ES3_N6thrust23THRUST_200600_302600_NS11hip_rocprim35transform_pair_of_input_iterators_tImNS8_6detail15normal_iteratorINS8_10device_ptrIiEEEESF_NS8_12not_equal_toIiEEEEPmmNS8_4plusImEEEE10hipError_tPvRmT1_T2_T3_mT4_P12ihipStream_tbEUlT_E0_NS1_11comp_targetILNS1_3genE2ELNS1_11target_archE906ELNS1_3gpuE6ELNS1_3repE0EEENS1_30default_config_static_selectorELNS0_4arch9wavefront6targetE0EEEvSP_.has_indirect_call, 0
	.section	.AMDGPU.csdata,"",@progbits
; Kernel info:
; codeLenInByte = 0
; TotalNumSgprs: 0
; NumVgprs: 0
; ScratchSize: 0
; MemoryBound: 0
; FloatMode: 240
; IeeeMode: 1
; LDSByteSize: 0 bytes/workgroup (compile time only)
; SGPRBlocks: 0
; VGPRBlocks: 0
; NumSGPRsForWavesPerEU: 1
; NumVGPRsForWavesPerEU: 1
; Occupancy: 16
; WaveLimiterHint : 0
; COMPUTE_PGM_RSRC2:SCRATCH_EN: 0
; COMPUTE_PGM_RSRC2:USER_SGPR: 6
; COMPUTE_PGM_RSRC2:TRAP_HANDLER: 0
; COMPUTE_PGM_RSRC2:TGID_X_EN: 1
; COMPUTE_PGM_RSRC2:TGID_Y_EN: 0
; COMPUTE_PGM_RSRC2:TGID_Z_EN: 0
; COMPUTE_PGM_RSRC2:TIDIG_COMP_CNT: 0
	.section	.text._ZN7rocprim17ROCPRIM_400000_NS6detail17trampoline_kernelINS0_14default_configENS1_22reduce_config_selectorImEEZNS1_11reduce_implILb1ES3_N6thrust23THRUST_200600_302600_NS11hip_rocprim35transform_pair_of_input_iterators_tImNS8_6detail15normal_iteratorINS8_10device_ptrIiEEEESF_NS8_12not_equal_toIiEEEEPmmNS8_4plusImEEEE10hipError_tPvRmT1_T2_T3_mT4_P12ihipStream_tbEUlT_E0_NS1_11comp_targetILNS1_3genE10ELNS1_11target_archE1201ELNS1_3gpuE5ELNS1_3repE0EEENS1_30default_config_static_selectorELNS0_4arch9wavefront6targetE0EEEvSP_,"axG",@progbits,_ZN7rocprim17ROCPRIM_400000_NS6detail17trampoline_kernelINS0_14default_configENS1_22reduce_config_selectorImEEZNS1_11reduce_implILb1ES3_N6thrust23THRUST_200600_302600_NS11hip_rocprim35transform_pair_of_input_iterators_tImNS8_6detail15normal_iteratorINS8_10device_ptrIiEEEESF_NS8_12not_equal_toIiEEEEPmmNS8_4plusImEEEE10hipError_tPvRmT1_T2_T3_mT4_P12ihipStream_tbEUlT_E0_NS1_11comp_targetILNS1_3genE10ELNS1_11target_archE1201ELNS1_3gpuE5ELNS1_3repE0EEENS1_30default_config_static_selectorELNS0_4arch9wavefront6targetE0EEEvSP_,comdat
	.protected	_ZN7rocprim17ROCPRIM_400000_NS6detail17trampoline_kernelINS0_14default_configENS1_22reduce_config_selectorImEEZNS1_11reduce_implILb1ES3_N6thrust23THRUST_200600_302600_NS11hip_rocprim35transform_pair_of_input_iterators_tImNS8_6detail15normal_iteratorINS8_10device_ptrIiEEEESF_NS8_12not_equal_toIiEEEEPmmNS8_4plusImEEEE10hipError_tPvRmT1_T2_T3_mT4_P12ihipStream_tbEUlT_E0_NS1_11comp_targetILNS1_3genE10ELNS1_11target_archE1201ELNS1_3gpuE5ELNS1_3repE0EEENS1_30default_config_static_selectorELNS0_4arch9wavefront6targetE0EEEvSP_ ; -- Begin function _ZN7rocprim17ROCPRIM_400000_NS6detail17trampoline_kernelINS0_14default_configENS1_22reduce_config_selectorImEEZNS1_11reduce_implILb1ES3_N6thrust23THRUST_200600_302600_NS11hip_rocprim35transform_pair_of_input_iterators_tImNS8_6detail15normal_iteratorINS8_10device_ptrIiEEEESF_NS8_12not_equal_toIiEEEEPmmNS8_4plusImEEEE10hipError_tPvRmT1_T2_T3_mT4_P12ihipStream_tbEUlT_E0_NS1_11comp_targetILNS1_3genE10ELNS1_11target_archE1201ELNS1_3gpuE5ELNS1_3repE0EEENS1_30default_config_static_selectorELNS0_4arch9wavefront6targetE0EEEvSP_
	.globl	_ZN7rocprim17ROCPRIM_400000_NS6detail17trampoline_kernelINS0_14default_configENS1_22reduce_config_selectorImEEZNS1_11reduce_implILb1ES3_N6thrust23THRUST_200600_302600_NS11hip_rocprim35transform_pair_of_input_iterators_tImNS8_6detail15normal_iteratorINS8_10device_ptrIiEEEESF_NS8_12not_equal_toIiEEEEPmmNS8_4plusImEEEE10hipError_tPvRmT1_T2_T3_mT4_P12ihipStream_tbEUlT_E0_NS1_11comp_targetILNS1_3genE10ELNS1_11target_archE1201ELNS1_3gpuE5ELNS1_3repE0EEENS1_30default_config_static_selectorELNS0_4arch9wavefront6targetE0EEEvSP_
	.p2align	8
	.type	_ZN7rocprim17ROCPRIM_400000_NS6detail17trampoline_kernelINS0_14default_configENS1_22reduce_config_selectorImEEZNS1_11reduce_implILb1ES3_N6thrust23THRUST_200600_302600_NS11hip_rocprim35transform_pair_of_input_iterators_tImNS8_6detail15normal_iteratorINS8_10device_ptrIiEEEESF_NS8_12not_equal_toIiEEEEPmmNS8_4plusImEEEE10hipError_tPvRmT1_T2_T3_mT4_P12ihipStream_tbEUlT_E0_NS1_11comp_targetILNS1_3genE10ELNS1_11target_archE1201ELNS1_3gpuE5ELNS1_3repE0EEENS1_30default_config_static_selectorELNS0_4arch9wavefront6targetE0EEEvSP_,@function
_ZN7rocprim17ROCPRIM_400000_NS6detail17trampoline_kernelINS0_14default_configENS1_22reduce_config_selectorImEEZNS1_11reduce_implILb1ES3_N6thrust23THRUST_200600_302600_NS11hip_rocprim35transform_pair_of_input_iterators_tImNS8_6detail15normal_iteratorINS8_10device_ptrIiEEEESF_NS8_12not_equal_toIiEEEEPmmNS8_4plusImEEEE10hipError_tPvRmT1_T2_T3_mT4_P12ihipStream_tbEUlT_E0_NS1_11comp_targetILNS1_3genE10ELNS1_11target_archE1201ELNS1_3gpuE5ELNS1_3repE0EEENS1_30default_config_static_selectorELNS0_4arch9wavefront6targetE0EEEvSP_: ; @_ZN7rocprim17ROCPRIM_400000_NS6detail17trampoline_kernelINS0_14default_configENS1_22reduce_config_selectorImEEZNS1_11reduce_implILb1ES3_N6thrust23THRUST_200600_302600_NS11hip_rocprim35transform_pair_of_input_iterators_tImNS8_6detail15normal_iteratorINS8_10device_ptrIiEEEESF_NS8_12not_equal_toIiEEEEPmmNS8_4plusImEEEE10hipError_tPvRmT1_T2_T3_mT4_P12ihipStream_tbEUlT_E0_NS1_11comp_targetILNS1_3genE10ELNS1_11target_archE1201ELNS1_3gpuE5ELNS1_3repE0EEENS1_30default_config_static_selectorELNS0_4arch9wavefront6targetE0EEEvSP_
; %bb.0:
	.section	.rodata,"a",@progbits
	.p2align	6, 0x0
	.amdhsa_kernel _ZN7rocprim17ROCPRIM_400000_NS6detail17trampoline_kernelINS0_14default_configENS1_22reduce_config_selectorImEEZNS1_11reduce_implILb1ES3_N6thrust23THRUST_200600_302600_NS11hip_rocprim35transform_pair_of_input_iterators_tImNS8_6detail15normal_iteratorINS8_10device_ptrIiEEEESF_NS8_12not_equal_toIiEEEEPmmNS8_4plusImEEEE10hipError_tPvRmT1_T2_T3_mT4_P12ihipStream_tbEUlT_E0_NS1_11comp_targetILNS1_3genE10ELNS1_11target_archE1201ELNS1_3gpuE5ELNS1_3repE0EEENS1_30default_config_static_selectorELNS0_4arch9wavefront6targetE0EEEvSP_
		.amdhsa_group_segment_fixed_size 0
		.amdhsa_private_segment_fixed_size 0
		.amdhsa_kernarg_size 80
		.amdhsa_user_sgpr_count 6
		.amdhsa_user_sgpr_private_segment_buffer 1
		.amdhsa_user_sgpr_dispatch_ptr 0
		.amdhsa_user_sgpr_queue_ptr 0
		.amdhsa_user_sgpr_kernarg_segment_ptr 1
		.amdhsa_user_sgpr_dispatch_id 0
		.amdhsa_user_sgpr_flat_scratch_init 0
		.amdhsa_user_sgpr_private_segment_size 0
		.amdhsa_wavefront_size32 1
		.amdhsa_uses_dynamic_stack 0
		.amdhsa_system_sgpr_private_segment_wavefront_offset 0
		.amdhsa_system_sgpr_workgroup_id_x 1
		.amdhsa_system_sgpr_workgroup_id_y 0
		.amdhsa_system_sgpr_workgroup_id_z 0
		.amdhsa_system_sgpr_workgroup_info 0
		.amdhsa_system_vgpr_workitem_id 0
		.amdhsa_next_free_vgpr 1
		.amdhsa_next_free_sgpr 1
		.amdhsa_reserve_vcc 0
		.amdhsa_reserve_flat_scratch 0
		.amdhsa_float_round_mode_32 0
		.amdhsa_float_round_mode_16_64 0
		.amdhsa_float_denorm_mode_32 3
		.amdhsa_float_denorm_mode_16_64 3
		.amdhsa_dx10_clamp 1
		.amdhsa_ieee_mode 1
		.amdhsa_fp16_overflow 0
		.amdhsa_workgroup_processor_mode 1
		.amdhsa_memory_ordered 1
		.amdhsa_forward_progress 1
		.amdhsa_shared_vgpr_count 0
		.amdhsa_exception_fp_ieee_invalid_op 0
		.amdhsa_exception_fp_denorm_src 0
		.amdhsa_exception_fp_ieee_div_zero 0
		.amdhsa_exception_fp_ieee_overflow 0
		.amdhsa_exception_fp_ieee_underflow 0
		.amdhsa_exception_fp_ieee_inexact 0
		.amdhsa_exception_int_div_zero 0
	.end_amdhsa_kernel
	.section	.text._ZN7rocprim17ROCPRIM_400000_NS6detail17trampoline_kernelINS0_14default_configENS1_22reduce_config_selectorImEEZNS1_11reduce_implILb1ES3_N6thrust23THRUST_200600_302600_NS11hip_rocprim35transform_pair_of_input_iterators_tImNS8_6detail15normal_iteratorINS8_10device_ptrIiEEEESF_NS8_12not_equal_toIiEEEEPmmNS8_4plusImEEEE10hipError_tPvRmT1_T2_T3_mT4_P12ihipStream_tbEUlT_E0_NS1_11comp_targetILNS1_3genE10ELNS1_11target_archE1201ELNS1_3gpuE5ELNS1_3repE0EEENS1_30default_config_static_selectorELNS0_4arch9wavefront6targetE0EEEvSP_,"axG",@progbits,_ZN7rocprim17ROCPRIM_400000_NS6detail17trampoline_kernelINS0_14default_configENS1_22reduce_config_selectorImEEZNS1_11reduce_implILb1ES3_N6thrust23THRUST_200600_302600_NS11hip_rocprim35transform_pair_of_input_iterators_tImNS8_6detail15normal_iteratorINS8_10device_ptrIiEEEESF_NS8_12not_equal_toIiEEEEPmmNS8_4plusImEEEE10hipError_tPvRmT1_T2_T3_mT4_P12ihipStream_tbEUlT_E0_NS1_11comp_targetILNS1_3genE10ELNS1_11target_archE1201ELNS1_3gpuE5ELNS1_3repE0EEENS1_30default_config_static_selectorELNS0_4arch9wavefront6targetE0EEEvSP_,comdat
.Lfunc_end43:
	.size	_ZN7rocprim17ROCPRIM_400000_NS6detail17trampoline_kernelINS0_14default_configENS1_22reduce_config_selectorImEEZNS1_11reduce_implILb1ES3_N6thrust23THRUST_200600_302600_NS11hip_rocprim35transform_pair_of_input_iterators_tImNS8_6detail15normal_iteratorINS8_10device_ptrIiEEEESF_NS8_12not_equal_toIiEEEEPmmNS8_4plusImEEEE10hipError_tPvRmT1_T2_T3_mT4_P12ihipStream_tbEUlT_E0_NS1_11comp_targetILNS1_3genE10ELNS1_11target_archE1201ELNS1_3gpuE5ELNS1_3repE0EEENS1_30default_config_static_selectorELNS0_4arch9wavefront6targetE0EEEvSP_, .Lfunc_end43-_ZN7rocprim17ROCPRIM_400000_NS6detail17trampoline_kernelINS0_14default_configENS1_22reduce_config_selectorImEEZNS1_11reduce_implILb1ES3_N6thrust23THRUST_200600_302600_NS11hip_rocprim35transform_pair_of_input_iterators_tImNS8_6detail15normal_iteratorINS8_10device_ptrIiEEEESF_NS8_12not_equal_toIiEEEEPmmNS8_4plusImEEEE10hipError_tPvRmT1_T2_T3_mT4_P12ihipStream_tbEUlT_E0_NS1_11comp_targetILNS1_3genE10ELNS1_11target_archE1201ELNS1_3gpuE5ELNS1_3repE0EEENS1_30default_config_static_selectorELNS0_4arch9wavefront6targetE0EEEvSP_
                                        ; -- End function
	.set _ZN7rocprim17ROCPRIM_400000_NS6detail17trampoline_kernelINS0_14default_configENS1_22reduce_config_selectorImEEZNS1_11reduce_implILb1ES3_N6thrust23THRUST_200600_302600_NS11hip_rocprim35transform_pair_of_input_iterators_tImNS8_6detail15normal_iteratorINS8_10device_ptrIiEEEESF_NS8_12not_equal_toIiEEEEPmmNS8_4plusImEEEE10hipError_tPvRmT1_T2_T3_mT4_P12ihipStream_tbEUlT_E0_NS1_11comp_targetILNS1_3genE10ELNS1_11target_archE1201ELNS1_3gpuE5ELNS1_3repE0EEENS1_30default_config_static_selectorELNS0_4arch9wavefront6targetE0EEEvSP_.num_vgpr, 0
	.set _ZN7rocprim17ROCPRIM_400000_NS6detail17trampoline_kernelINS0_14default_configENS1_22reduce_config_selectorImEEZNS1_11reduce_implILb1ES3_N6thrust23THRUST_200600_302600_NS11hip_rocprim35transform_pair_of_input_iterators_tImNS8_6detail15normal_iteratorINS8_10device_ptrIiEEEESF_NS8_12not_equal_toIiEEEEPmmNS8_4plusImEEEE10hipError_tPvRmT1_T2_T3_mT4_P12ihipStream_tbEUlT_E0_NS1_11comp_targetILNS1_3genE10ELNS1_11target_archE1201ELNS1_3gpuE5ELNS1_3repE0EEENS1_30default_config_static_selectorELNS0_4arch9wavefront6targetE0EEEvSP_.num_agpr, 0
	.set _ZN7rocprim17ROCPRIM_400000_NS6detail17trampoline_kernelINS0_14default_configENS1_22reduce_config_selectorImEEZNS1_11reduce_implILb1ES3_N6thrust23THRUST_200600_302600_NS11hip_rocprim35transform_pair_of_input_iterators_tImNS8_6detail15normal_iteratorINS8_10device_ptrIiEEEESF_NS8_12not_equal_toIiEEEEPmmNS8_4plusImEEEE10hipError_tPvRmT1_T2_T3_mT4_P12ihipStream_tbEUlT_E0_NS1_11comp_targetILNS1_3genE10ELNS1_11target_archE1201ELNS1_3gpuE5ELNS1_3repE0EEENS1_30default_config_static_selectorELNS0_4arch9wavefront6targetE0EEEvSP_.numbered_sgpr, 0
	.set _ZN7rocprim17ROCPRIM_400000_NS6detail17trampoline_kernelINS0_14default_configENS1_22reduce_config_selectorImEEZNS1_11reduce_implILb1ES3_N6thrust23THRUST_200600_302600_NS11hip_rocprim35transform_pair_of_input_iterators_tImNS8_6detail15normal_iteratorINS8_10device_ptrIiEEEESF_NS8_12not_equal_toIiEEEEPmmNS8_4plusImEEEE10hipError_tPvRmT1_T2_T3_mT4_P12ihipStream_tbEUlT_E0_NS1_11comp_targetILNS1_3genE10ELNS1_11target_archE1201ELNS1_3gpuE5ELNS1_3repE0EEENS1_30default_config_static_selectorELNS0_4arch9wavefront6targetE0EEEvSP_.num_named_barrier, 0
	.set _ZN7rocprim17ROCPRIM_400000_NS6detail17trampoline_kernelINS0_14default_configENS1_22reduce_config_selectorImEEZNS1_11reduce_implILb1ES3_N6thrust23THRUST_200600_302600_NS11hip_rocprim35transform_pair_of_input_iterators_tImNS8_6detail15normal_iteratorINS8_10device_ptrIiEEEESF_NS8_12not_equal_toIiEEEEPmmNS8_4plusImEEEE10hipError_tPvRmT1_T2_T3_mT4_P12ihipStream_tbEUlT_E0_NS1_11comp_targetILNS1_3genE10ELNS1_11target_archE1201ELNS1_3gpuE5ELNS1_3repE0EEENS1_30default_config_static_selectorELNS0_4arch9wavefront6targetE0EEEvSP_.private_seg_size, 0
	.set _ZN7rocprim17ROCPRIM_400000_NS6detail17trampoline_kernelINS0_14default_configENS1_22reduce_config_selectorImEEZNS1_11reduce_implILb1ES3_N6thrust23THRUST_200600_302600_NS11hip_rocprim35transform_pair_of_input_iterators_tImNS8_6detail15normal_iteratorINS8_10device_ptrIiEEEESF_NS8_12not_equal_toIiEEEEPmmNS8_4plusImEEEE10hipError_tPvRmT1_T2_T3_mT4_P12ihipStream_tbEUlT_E0_NS1_11comp_targetILNS1_3genE10ELNS1_11target_archE1201ELNS1_3gpuE5ELNS1_3repE0EEENS1_30default_config_static_selectorELNS0_4arch9wavefront6targetE0EEEvSP_.uses_vcc, 0
	.set _ZN7rocprim17ROCPRIM_400000_NS6detail17trampoline_kernelINS0_14default_configENS1_22reduce_config_selectorImEEZNS1_11reduce_implILb1ES3_N6thrust23THRUST_200600_302600_NS11hip_rocprim35transform_pair_of_input_iterators_tImNS8_6detail15normal_iteratorINS8_10device_ptrIiEEEESF_NS8_12not_equal_toIiEEEEPmmNS8_4plusImEEEE10hipError_tPvRmT1_T2_T3_mT4_P12ihipStream_tbEUlT_E0_NS1_11comp_targetILNS1_3genE10ELNS1_11target_archE1201ELNS1_3gpuE5ELNS1_3repE0EEENS1_30default_config_static_selectorELNS0_4arch9wavefront6targetE0EEEvSP_.uses_flat_scratch, 0
	.set _ZN7rocprim17ROCPRIM_400000_NS6detail17trampoline_kernelINS0_14default_configENS1_22reduce_config_selectorImEEZNS1_11reduce_implILb1ES3_N6thrust23THRUST_200600_302600_NS11hip_rocprim35transform_pair_of_input_iterators_tImNS8_6detail15normal_iteratorINS8_10device_ptrIiEEEESF_NS8_12not_equal_toIiEEEEPmmNS8_4plusImEEEE10hipError_tPvRmT1_T2_T3_mT4_P12ihipStream_tbEUlT_E0_NS1_11comp_targetILNS1_3genE10ELNS1_11target_archE1201ELNS1_3gpuE5ELNS1_3repE0EEENS1_30default_config_static_selectorELNS0_4arch9wavefront6targetE0EEEvSP_.has_dyn_sized_stack, 0
	.set _ZN7rocprim17ROCPRIM_400000_NS6detail17trampoline_kernelINS0_14default_configENS1_22reduce_config_selectorImEEZNS1_11reduce_implILb1ES3_N6thrust23THRUST_200600_302600_NS11hip_rocprim35transform_pair_of_input_iterators_tImNS8_6detail15normal_iteratorINS8_10device_ptrIiEEEESF_NS8_12not_equal_toIiEEEEPmmNS8_4plusImEEEE10hipError_tPvRmT1_T2_T3_mT4_P12ihipStream_tbEUlT_E0_NS1_11comp_targetILNS1_3genE10ELNS1_11target_archE1201ELNS1_3gpuE5ELNS1_3repE0EEENS1_30default_config_static_selectorELNS0_4arch9wavefront6targetE0EEEvSP_.has_recursion, 0
	.set _ZN7rocprim17ROCPRIM_400000_NS6detail17trampoline_kernelINS0_14default_configENS1_22reduce_config_selectorImEEZNS1_11reduce_implILb1ES3_N6thrust23THRUST_200600_302600_NS11hip_rocprim35transform_pair_of_input_iterators_tImNS8_6detail15normal_iteratorINS8_10device_ptrIiEEEESF_NS8_12not_equal_toIiEEEEPmmNS8_4plusImEEEE10hipError_tPvRmT1_T2_T3_mT4_P12ihipStream_tbEUlT_E0_NS1_11comp_targetILNS1_3genE10ELNS1_11target_archE1201ELNS1_3gpuE5ELNS1_3repE0EEENS1_30default_config_static_selectorELNS0_4arch9wavefront6targetE0EEEvSP_.has_indirect_call, 0
	.section	.AMDGPU.csdata,"",@progbits
; Kernel info:
; codeLenInByte = 0
; TotalNumSgprs: 0
; NumVgprs: 0
; ScratchSize: 0
; MemoryBound: 0
; FloatMode: 240
; IeeeMode: 1
; LDSByteSize: 0 bytes/workgroup (compile time only)
; SGPRBlocks: 0
; VGPRBlocks: 0
; NumSGPRsForWavesPerEU: 1
; NumVGPRsForWavesPerEU: 1
; Occupancy: 16
; WaveLimiterHint : 0
; COMPUTE_PGM_RSRC2:SCRATCH_EN: 0
; COMPUTE_PGM_RSRC2:USER_SGPR: 6
; COMPUTE_PGM_RSRC2:TRAP_HANDLER: 0
; COMPUTE_PGM_RSRC2:TGID_X_EN: 1
; COMPUTE_PGM_RSRC2:TGID_Y_EN: 0
; COMPUTE_PGM_RSRC2:TGID_Z_EN: 0
; COMPUTE_PGM_RSRC2:TIDIG_COMP_CNT: 0
	.section	.text._ZN7rocprim17ROCPRIM_400000_NS6detail17trampoline_kernelINS0_14default_configENS1_22reduce_config_selectorImEEZNS1_11reduce_implILb1ES3_N6thrust23THRUST_200600_302600_NS11hip_rocprim35transform_pair_of_input_iterators_tImNS8_6detail15normal_iteratorINS8_10device_ptrIiEEEESF_NS8_12not_equal_toIiEEEEPmmNS8_4plusImEEEE10hipError_tPvRmT1_T2_T3_mT4_P12ihipStream_tbEUlT_E0_NS1_11comp_targetILNS1_3genE10ELNS1_11target_archE1200ELNS1_3gpuE4ELNS1_3repE0EEENS1_30default_config_static_selectorELNS0_4arch9wavefront6targetE0EEEvSP_,"axG",@progbits,_ZN7rocprim17ROCPRIM_400000_NS6detail17trampoline_kernelINS0_14default_configENS1_22reduce_config_selectorImEEZNS1_11reduce_implILb1ES3_N6thrust23THRUST_200600_302600_NS11hip_rocprim35transform_pair_of_input_iterators_tImNS8_6detail15normal_iteratorINS8_10device_ptrIiEEEESF_NS8_12not_equal_toIiEEEEPmmNS8_4plusImEEEE10hipError_tPvRmT1_T2_T3_mT4_P12ihipStream_tbEUlT_E0_NS1_11comp_targetILNS1_3genE10ELNS1_11target_archE1200ELNS1_3gpuE4ELNS1_3repE0EEENS1_30default_config_static_selectorELNS0_4arch9wavefront6targetE0EEEvSP_,comdat
	.protected	_ZN7rocprim17ROCPRIM_400000_NS6detail17trampoline_kernelINS0_14default_configENS1_22reduce_config_selectorImEEZNS1_11reduce_implILb1ES3_N6thrust23THRUST_200600_302600_NS11hip_rocprim35transform_pair_of_input_iterators_tImNS8_6detail15normal_iteratorINS8_10device_ptrIiEEEESF_NS8_12not_equal_toIiEEEEPmmNS8_4plusImEEEE10hipError_tPvRmT1_T2_T3_mT4_P12ihipStream_tbEUlT_E0_NS1_11comp_targetILNS1_3genE10ELNS1_11target_archE1200ELNS1_3gpuE4ELNS1_3repE0EEENS1_30default_config_static_selectorELNS0_4arch9wavefront6targetE0EEEvSP_ ; -- Begin function _ZN7rocprim17ROCPRIM_400000_NS6detail17trampoline_kernelINS0_14default_configENS1_22reduce_config_selectorImEEZNS1_11reduce_implILb1ES3_N6thrust23THRUST_200600_302600_NS11hip_rocprim35transform_pair_of_input_iterators_tImNS8_6detail15normal_iteratorINS8_10device_ptrIiEEEESF_NS8_12not_equal_toIiEEEEPmmNS8_4plusImEEEE10hipError_tPvRmT1_T2_T3_mT4_P12ihipStream_tbEUlT_E0_NS1_11comp_targetILNS1_3genE10ELNS1_11target_archE1200ELNS1_3gpuE4ELNS1_3repE0EEENS1_30default_config_static_selectorELNS0_4arch9wavefront6targetE0EEEvSP_
	.globl	_ZN7rocprim17ROCPRIM_400000_NS6detail17trampoline_kernelINS0_14default_configENS1_22reduce_config_selectorImEEZNS1_11reduce_implILb1ES3_N6thrust23THRUST_200600_302600_NS11hip_rocprim35transform_pair_of_input_iterators_tImNS8_6detail15normal_iteratorINS8_10device_ptrIiEEEESF_NS8_12not_equal_toIiEEEEPmmNS8_4plusImEEEE10hipError_tPvRmT1_T2_T3_mT4_P12ihipStream_tbEUlT_E0_NS1_11comp_targetILNS1_3genE10ELNS1_11target_archE1200ELNS1_3gpuE4ELNS1_3repE0EEENS1_30default_config_static_selectorELNS0_4arch9wavefront6targetE0EEEvSP_
	.p2align	8
	.type	_ZN7rocprim17ROCPRIM_400000_NS6detail17trampoline_kernelINS0_14default_configENS1_22reduce_config_selectorImEEZNS1_11reduce_implILb1ES3_N6thrust23THRUST_200600_302600_NS11hip_rocprim35transform_pair_of_input_iterators_tImNS8_6detail15normal_iteratorINS8_10device_ptrIiEEEESF_NS8_12not_equal_toIiEEEEPmmNS8_4plusImEEEE10hipError_tPvRmT1_T2_T3_mT4_P12ihipStream_tbEUlT_E0_NS1_11comp_targetILNS1_3genE10ELNS1_11target_archE1200ELNS1_3gpuE4ELNS1_3repE0EEENS1_30default_config_static_selectorELNS0_4arch9wavefront6targetE0EEEvSP_,@function
_ZN7rocprim17ROCPRIM_400000_NS6detail17trampoline_kernelINS0_14default_configENS1_22reduce_config_selectorImEEZNS1_11reduce_implILb1ES3_N6thrust23THRUST_200600_302600_NS11hip_rocprim35transform_pair_of_input_iterators_tImNS8_6detail15normal_iteratorINS8_10device_ptrIiEEEESF_NS8_12not_equal_toIiEEEEPmmNS8_4plusImEEEE10hipError_tPvRmT1_T2_T3_mT4_P12ihipStream_tbEUlT_E0_NS1_11comp_targetILNS1_3genE10ELNS1_11target_archE1200ELNS1_3gpuE4ELNS1_3repE0EEENS1_30default_config_static_selectorELNS0_4arch9wavefront6targetE0EEEvSP_: ; @_ZN7rocprim17ROCPRIM_400000_NS6detail17trampoline_kernelINS0_14default_configENS1_22reduce_config_selectorImEEZNS1_11reduce_implILb1ES3_N6thrust23THRUST_200600_302600_NS11hip_rocprim35transform_pair_of_input_iterators_tImNS8_6detail15normal_iteratorINS8_10device_ptrIiEEEESF_NS8_12not_equal_toIiEEEEPmmNS8_4plusImEEEE10hipError_tPvRmT1_T2_T3_mT4_P12ihipStream_tbEUlT_E0_NS1_11comp_targetILNS1_3genE10ELNS1_11target_archE1200ELNS1_3gpuE4ELNS1_3repE0EEENS1_30default_config_static_selectorELNS0_4arch9wavefront6targetE0EEEvSP_
; %bb.0:
	.section	.rodata,"a",@progbits
	.p2align	6, 0x0
	.amdhsa_kernel _ZN7rocprim17ROCPRIM_400000_NS6detail17trampoline_kernelINS0_14default_configENS1_22reduce_config_selectorImEEZNS1_11reduce_implILb1ES3_N6thrust23THRUST_200600_302600_NS11hip_rocprim35transform_pair_of_input_iterators_tImNS8_6detail15normal_iteratorINS8_10device_ptrIiEEEESF_NS8_12not_equal_toIiEEEEPmmNS8_4plusImEEEE10hipError_tPvRmT1_T2_T3_mT4_P12ihipStream_tbEUlT_E0_NS1_11comp_targetILNS1_3genE10ELNS1_11target_archE1200ELNS1_3gpuE4ELNS1_3repE0EEENS1_30default_config_static_selectorELNS0_4arch9wavefront6targetE0EEEvSP_
		.amdhsa_group_segment_fixed_size 0
		.amdhsa_private_segment_fixed_size 0
		.amdhsa_kernarg_size 80
		.amdhsa_user_sgpr_count 6
		.amdhsa_user_sgpr_private_segment_buffer 1
		.amdhsa_user_sgpr_dispatch_ptr 0
		.amdhsa_user_sgpr_queue_ptr 0
		.amdhsa_user_sgpr_kernarg_segment_ptr 1
		.amdhsa_user_sgpr_dispatch_id 0
		.amdhsa_user_sgpr_flat_scratch_init 0
		.amdhsa_user_sgpr_private_segment_size 0
		.amdhsa_wavefront_size32 1
		.amdhsa_uses_dynamic_stack 0
		.amdhsa_system_sgpr_private_segment_wavefront_offset 0
		.amdhsa_system_sgpr_workgroup_id_x 1
		.amdhsa_system_sgpr_workgroup_id_y 0
		.amdhsa_system_sgpr_workgroup_id_z 0
		.amdhsa_system_sgpr_workgroup_info 0
		.amdhsa_system_vgpr_workitem_id 0
		.amdhsa_next_free_vgpr 1
		.amdhsa_next_free_sgpr 1
		.amdhsa_reserve_vcc 0
		.amdhsa_reserve_flat_scratch 0
		.amdhsa_float_round_mode_32 0
		.amdhsa_float_round_mode_16_64 0
		.amdhsa_float_denorm_mode_32 3
		.amdhsa_float_denorm_mode_16_64 3
		.amdhsa_dx10_clamp 1
		.amdhsa_ieee_mode 1
		.amdhsa_fp16_overflow 0
		.amdhsa_workgroup_processor_mode 1
		.amdhsa_memory_ordered 1
		.amdhsa_forward_progress 1
		.amdhsa_shared_vgpr_count 0
		.amdhsa_exception_fp_ieee_invalid_op 0
		.amdhsa_exception_fp_denorm_src 0
		.amdhsa_exception_fp_ieee_div_zero 0
		.amdhsa_exception_fp_ieee_overflow 0
		.amdhsa_exception_fp_ieee_underflow 0
		.amdhsa_exception_fp_ieee_inexact 0
		.amdhsa_exception_int_div_zero 0
	.end_amdhsa_kernel
	.section	.text._ZN7rocprim17ROCPRIM_400000_NS6detail17trampoline_kernelINS0_14default_configENS1_22reduce_config_selectorImEEZNS1_11reduce_implILb1ES3_N6thrust23THRUST_200600_302600_NS11hip_rocprim35transform_pair_of_input_iterators_tImNS8_6detail15normal_iteratorINS8_10device_ptrIiEEEESF_NS8_12not_equal_toIiEEEEPmmNS8_4plusImEEEE10hipError_tPvRmT1_T2_T3_mT4_P12ihipStream_tbEUlT_E0_NS1_11comp_targetILNS1_3genE10ELNS1_11target_archE1200ELNS1_3gpuE4ELNS1_3repE0EEENS1_30default_config_static_selectorELNS0_4arch9wavefront6targetE0EEEvSP_,"axG",@progbits,_ZN7rocprim17ROCPRIM_400000_NS6detail17trampoline_kernelINS0_14default_configENS1_22reduce_config_selectorImEEZNS1_11reduce_implILb1ES3_N6thrust23THRUST_200600_302600_NS11hip_rocprim35transform_pair_of_input_iterators_tImNS8_6detail15normal_iteratorINS8_10device_ptrIiEEEESF_NS8_12not_equal_toIiEEEEPmmNS8_4plusImEEEE10hipError_tPvRmT1_T2_T3_mT4_P12ihipStream_tbEUlT_E0_NS1_11comp_targetILNS1_3genE10ELNS1_11target_archE1200ELNS1_3gpuE4ELNS1_3repE0EEENS1_30default_config_static_selectorELNS0_4arch9wavefront6targetE0EEEvSP_,comdat
.Lfunc_end44:
	.size	_ZN7rocprim17ROCPRIM_400000_NS6detail17trampoline_kernelINS0_14default_configENS1_22reduce_config_selectorImEEZNS1_11reduce_implILb1ES3_N6thrust23THRUST_200600_302600_NS11hip_rocprim35transform_pair_of_input_iterators_tImNS8_6detail15normal_iteratorINS8_10device_ptrIiEEEESF_NS8_12not_equal_toIiEEEEPmmNS8_4plusImEEEE10hipError_tPvRmT1_T2_T3_mT4_P12ihipStream_tbEUlT_E0_NS1_11comp_targetILNS1_3genE10ELNS1_11target_archE1200ELNS1_3gpuE4ELNS1_3repE0EEENS1_30default_config_static_selectorELNS0_4arch9wavefront6targetE0EEEvSP_, .Lfunc_end44-_ZN7rocprim17ROCPRIM_400000_NS6detail17trampoline_kernelINS0_14default_configENS1_22reduce_config_selectorImEEZNS1_11reduce_implILb1ES3_N6thrust23THRUST_200600_302600_NS11hip_rocprim35transform_pair_of_input_iterators_tImNS8_6detail15normal_iteratorINS8_10device_ptrIiEEEESF_NS8_12not_equal_toIiEEEEPmmNS8_4plusImEEEE10hipError_tPvRmT1_T2_T3_mT4_P12ihipStream_tbEUlT_E0_NS1_11comp_targetILNS1_3genE10ELNS1_11target_archE1200ELNS1_3gpuE4ELNS1_3repE0EEENS1_30default_config_static_selectorELNS0_4arch9wavefront6targetE0EEEvSP_
                                        ; -- End function
	.set _ZN7rocprim17ROCPRIM_400000_NS6detail17trampoline_kernelINS0_14default_configENS1_22reduce_config_selectorImEEZNS1_11reduce_implILb1ES3_N6thrust23THRUST_200600_302600_NS11hip_rocprim35transform_pair_of_input_iterators_tImNS8_6detail15normal_iteratorINS8_10device_ptrIiEEEESF_NS8_12not_equal_toIiEEEEPmmNS8_4plusImEEEE10hipError_tPvRmT1_T2_T3_mT4_P12ihipStream_tbEUlT_E0_NS1_11comp_targetILNS1_3genE10ELNS1_11target_archE1200ELNS1_3gpuE4ELNS1_3repE0EEENS1_30default_config_static_selectorELNS0_4arch9wavefront6targetE0EEEvSP_.num_vgpr, 0
	.set _ZN7rocprim17ROCPRIM_400000_NS6detail17trampoline_kernelINS0_14default_configENS1_22reduce_config_selectorImEEZNS1_11reduce_implILb1ES3_N6thrust23THRUST_200600_302600_NS11hip_rocprim35transform_pair_of_input_iterators_tImNS8_6detail15normal_iteratorINS8_10device_ptrIiEEEESF_NS8_12not_equal_toIiEEEEPmmNS8_4plusImEEEE10hipError_tPvRmT1_T2_T3_mT4_P12ihipStream_tbEUlT_E0_NS1_11comp_targetILNS1_3genE10ELNS1_11target_archE1200ELNS1_3gpuE4ELNS1_3repE0EEENS1_30default_config_static_selectorELNS0_4arch9wavefront6targetE0EEEvSP_.num_agpr, 0
	.set _ZN7rocprim17ROCPRIM_400000_NS6detail17trampoline_kernelINS0_14default_configENS1_22reduce_config_selectorImEEZNS1_11reduce_implILb1ES3_N6thrust23THRUST_200600_302600_NS11hip_rocprim35transform_pair_of_input_iterators_tImNS8_6detail15normal_iteratorINS8_10device_ptrIiEEEESF_NS8_12not_equal_toIiEEEEPmmNS8_4plusImEEEE10hipError_tPvRmT1_T2_T3_mT4_P12ihipStream_tbEUlT_E0_NS1_11comp_targetILNS1_3genE10ELNS1_11target_archE1200ELNS1_3gpuE4ELNS1_3repE0EEENS1_30default_config_static_selectorELNS0_4arch9wavefront6targetE0EEEvSP_.numbered_sgpr, 0
	.set _ZN7rocprim17ROCPRIM_400000_NS6detail17trampoline_kernelINS0_14default_configENS1_22reduce_config_selectorImEEZNS1_11reduce_implILb1ES3_N6thrust23THRUST_200600_302600_NS11hip_rocprim35transform_pair_of_input_iterators_tImNS8_6detail15normal_iteratorINS8_10device_ptrIiEEEESF_NS8_12not_equal_toIiEEEEPmmNS8_4plusImEEEE10hipError_tPvRmT1_T2_T3_mT4_P12ihipStream_tbEUlT_E0_NS1_11comp_targetILNS1_3genE10ELNS1_11target_archE1200ELNS1_3gpuE4ELNS1_3repE0EEENS1_30default_config_static_selectorELNS0_4arch9wavefront6targetE0EEEvSP_.num_named_barrier, 0
	.set _ZN7rocprim17ROCPRIM_400000_NS6detail17trampoline_kernelINS0_14default_configENS1_22reduce_config_selectorImEEZNS1_11reduce_implILb1ES3_N6thrust23THRUST_200600_302600_NS11hip_rocprim35transform_pair_of_input_iterators_tImNS8_6detail15normal_iteratorINS8_10device_ptrIiEEEESF_NS8_12not_equal_toIiEEEEPmmNS8_4plusImEEEE10hipError_tPvRmT1_T2_T3_mT4_P12ihipStream_tbEUlT_E0_NS1_11comp_targetILNS1_3genE10ELNS1_11target_archE1200ELNS1_3gpuE4ELNS1_3repE0EEENS1_30default_config_static_selectorELNS0_4arch9wavefront6targetE0EEEvSP_.private_seg_size, 0
	.set _ZN7rocprim17ROCPRIM_400000_NS6detail17trampoline_kernelINS0_14default_configENS1_22reduce_config_selectorImEEZNS1_11reduce_implILb1ES3_N6thrust23THRUST_200600_302600_NS11hip_rocprim35transform_pair_of_input_iterators_tImNS8_6detail15normal_iteratorINS8_10device_ptrIiEEEESF_NS8_12not_equal_toIiEEEEPmmNS8_4plusImEEEE10hipError_tPvRmT1_T2_T3_mT4_P12ihipStream_tbEUlT_E0_NS1_11comp_targetILNS1_3genE10ELNS1_11target_archE1200ELNS1_3gpuE4ELNS1_3repE0EEENS1_30default_config_static_selectorELNS0_4arch9wavefront6targetE0EEEvSP_.uses_vcc, 0
	.set _ZN7rocprim17ROCPRIM_400000_NS6detail17trampoline_kernelINS0_14default_configENS1_22reduce_config_selectorImEEZNS1_11reduce_implILb1ES3_N6thrust23THRUST_200600_302600_NS11hip_rocprim35transform_pair_of_input_iterators_tImNS8_6detail15normal_iteratorINS8_10device_ptrIiEEEESF_NS8_12not_equal_toIiEEEEPmmNS8_4plusImEEEE10hipError_tPvRmT1_T2_T3_mT4_P12ihipStream_tbEUlT_E0_NS1_11comp_targetILNS1_3genE10ELNS1_11target_archE1200ELNS1_3gpuE4ELNS1_3repE0EEENS1_30default_config_static_selectorELNS0_4arch9wavefront6targetE0EEEvSP_.uses_flat_scratch, 0
	.set _ZN7rocprim17ROCPRIM_400000_NS6detail17trampoline_kernelINS0_14default_configENS1_22reduce_config_selectorImEEZNS1_11reduce_implILb1ES3_N6thrust23THRUST_200600_302600_NS11hip_rocprim35transform_pair_of_input_iterators_tImNS8_6detail15normal_iteratorINS8_10device_ptrIiEEEESF_NS8_12not_equal_toIiEEEEPmmNS8_4plusImEEEE10hipError_tPvRmT1_T2_T3_mT4_P12ihipStream_tbEUlT_E0_NS1_11comp_targetILNS1_3genE10ELNS1_11target_archE1200ELNS1_3gpuE4ELNS1_3repE0EEENS1_30default_config_static_selectorELNS0_4arch9wavefront6targetE0EEEvSP_.has_dyn_sized_stack, 0
	.set _ZN7rocprim17ROCPRIM_400000_NS6detail17trampoline_kernelINS0_14default_configENS1_22reduce_config_selectorImEEZNS1_11reduce_implILb1ES3_N6thrust23THRUST_200600_302600_NS11hip_rocprim35transform_pair_of_input_iterators_tImNS8_6detail15normal_iteratorINS8_10device_ptrIiEEEESF_NS8_12not_equal_toIiEEEEPmmNS8_4plusImEEEE10hipError_tPvRmT1_T2_T3_mT4_P12ihipStream_tbEUlT_E0_NS1_11comp_targetILNS1_3genE10ELNS1_11target_archE1200ELNS1_3gpuE4ELNS1_3repE0EEENS1_30default_config_static_selectorELNS0_4arch9wavefront6targetE0EEEvSP_.has_recursion, 0
	.set _ZN7rocprim17ROCPRIM_400000_NS6detail17trampoline_kernelINS0_14default_configENS1_22reduce_config_selectorImEEZNS1_11reduce_implILb1ES3_N6thrust23THRUST_200600_302600_NS11hip_rocprim35transform_pair_of_input_iterators_tImNS8_6detail15normal_iteratorINS8_10device_ptrIiEEEESF_NS8_12not_equal_toIiEEEEPmmNS8_4plusImEEEE10hipError_tPvRmT1_T2_T3_mT4_P12ihipStream_tbEUlT_E0_NS1_11comp_targetILNS1_3genE10ELNS1_11target_archE1200ELNS1_3gpuE4ELNS1_3repE0EEENS1_30default_config_static_selectorELNS0_4arch9wavefront6targetE0EEEvSP_.has_indirect_call, 0
	.section	.AMDGPU.csdata,"",@progbits
; Kernel info:
; codeLenInByte = 0
; TotalNumSgprs: 0
; NumVgprs: 0
; ScratchSize: 0
; MemoryBound: 0
; FloatMode: 240
; IeeeMode: 1
; LDSByteSize: 0 bytes/workgroup (compile time only)
; SGPRBlocks: 0
; VGPRBlocks: 0
; NumSGPRsForWavesPerEU: 1
; NumVGPRsForWavesPerEU: 1
; Occupancy: 16
; WaveLimiterHint : 0
; COMPUTE_PGM_RSRC2:SCRATCH_EN: 0
; COMPUTE_PGM_RSRC2:USER_SGPR: 6
; COMPUTE_PGM_RSRC2:TRAP_HANDLER: 0
; COMPUTE_PGM_RSRC2:TGID_X_EN: 1
; COMPUTE_PGM_RSRC2:TGID_Y_EN: 0
; COMPUTE_PGM_RSRC2:TGID_Z_EN: 0
; COMPUTE_PGM_RSRC2:TIDIG_COMP_CNT: 0
	.section	.text._ZN7rocprim17ROCPRIM_400000_NS6detail17trampoline_kernelINS0_14default_configENS1_22reduce_config_selectorImEEZNS1_11reduce_implILb1ES3_N6thrust23THRUST_200600_302600_NS11hip_rocprim35transform_pair_of_input_iterators_tImNS8_6detail15normal_iteratorINS8_10device_ptrIiEEEESF_NS8_12not_equal_toIiEEEEPmmNS8_4plusImEEEE10hipError_tPvRmT1_T2_T3_mT4_P12ihipStream_tbEUlT_E0_NS1_11comp_targetILNS1_3genE9ELNS1_11target_archE1100ELNS1_3gpuE3ELNS1_3repE0EEENS1_30default_config_static_selectorELNS0_4arch9wavefront6targetE0EEEvSP_,"axG",@progbits,_ZN7rocprim17ROCPRIM_400000_NS6detail17trampoline_kernelINS0_14default_configENS1_22reduce_config_selectorImEEZNS1_11reduce_implILb1ES3_N6thrust23THRUST_200600_302600_NS11hip_rocprim35transform_pair_of_input_iterators_tImNS8_6detail15normal_iteratorINS8_10device_ptrIiEEEESF_NS8_12not_equal_toIiEEEEPmmNS8_4plusImEEEE10hipError_tPvRmT1_T2_T3_mT4_P12ihipStream_tbEUlT_E0_NS1_11comp_targetILNS1_3genE9ELNS1_11target_archE1100ELNS1_3gpuE3ELNS1_3repE0EEENS1_30default_config_static_selectorELNS0_4arch9wavefront6targetE0EEEvSP_,comdat
	.protected	_ZN7rocprim17ROCPRIM_400000_NS6detail17trampoline_kernelINS0_14default_configENS1_22reduce_config_selectorImEEZNS1_11reduce_implILb1ES3_N6thrust23THRUST_200600_302600_NS11hip_rocprim35transform_pair_of_input_iterators_tImNS8_6detail15normal_iteratorINS8_10device_ptrIiEEEESF_NS8_12not_equal_toIiEEEEPmmNS8_4plusImEEEE10hipError_tPvRmT1_T2_T3_mT4_P12ihipStream_tbEUlT_E0_NS1_11comp_targetILNS1_3genE9ELNS1_11target_archE1100ELNS1_3gpuE3ELNS1_3repE0EEENS1_30default_config_static_selectorELNS0_4arch9wavefront6targetE0EEEvSP_ ; -- Begin function _ZN7rocprim17ROCPRIM_400000_NS6detail17trampoline_kernelINS0_14default_configENS1_22reduce_config_selectorImEEZNS1_11reduce_implILb1ES3_N6thrust23THRUST_200600_302600_NS11hip_rocprim35transform_pair_of_input_iterators_tImNS8_6detail15normal_iteratorINS8_10device_ptrIiEEEESF_NS8_12not_equal_toIiEEEEPmmNS8_4plusImEEEE10hipError_tPvRmT1_T2_T3_mT4_P12ihipStream_tbEUlT_E0_NS1_11comp_targetILNS1_3genE9ELNS1_11target_archE1100ELNS1_3gpuE3ELNS1_3repE0EEENS1_30default_config_static_selectorELNS0_4arch9wavefront6targetE0EEEvSP_
	.globl	_ZN7rocprim17ROCPRIM_400000_NS6detail17trampoline_kernelINS0_14default_configENS1_22reduce_config_selectorImEEZNS1_11reduce_implILb1ES3_N6thrust23THRUST_200600_302600_NS11hip_rocprim35transform_pair_of_input_iterators_tImNS8_6detail15normal_iteratorINS8_10device_ptrIiEEEESF_NS8_12not_equal_toIiEEEEPmmNS8_4plusImEEEE10hipError_tPvRmT1_T2_T3_mT4_P12ihipStream_tbEUlT_E0_NS1_11comp_targetILNS1_3genE9ELNS1_11target_archE1100ELNS1_3gpuE3ELNS1_3repE0EEENS1_30default_config_static_selectorELNS0_4arch9wavefront6targetE0EEEvSP_
	.p2align	8
	.type	_ZN7rocprim17ROCPRIM_400000_NS6detail17trampoline_kernelINS0_14default_configENS1_22reduce_config_selectorImEEZNS1_11reduce_implILb1ES3_N6thrust23THRUST_200600_302600_NS11hip_rocprim35transform_pair_of_input_iterators_tImNS8_6detail15normal_iteratorINS8_10device_ptrIiEEEESF_NS8_12not_equal_toIiEEEEPmmNS8_4plusImEEEE10hipError_tPvRmT1_T2_T3_mT4_P12ihipStream_tbEUlT_E0_NS1_11comp_targetILNS1_3genE9ELNS1_11target_archE1100ELNS1_3gpuE3ELNS1_3repE0EEENS1_30default_config_static_selectorELNS0_4arch9wavefront6targetE0EEEvSP_,@function
_ZN7rocprim17ROCPRIM_400000_NS6detail17trampoline_kernelINS0_14default_configENS1_22reduce_config_selectorImEEZNS1_11reduce_implILb1ES3_N6thrust23THRUST_200600_302600_NS11hip_rocprim35transform_pair_of_input_iterators_tImNS8_6detail15normal_iteratorINS8_10device_ptrIiEEEESF_NS8_12not_equal_toIiEEEEPmmNS8_4plusImEEEE10hipError_tPvRmT1_T2_T3_mT4_P12ihipStream_tbEUlT_E0_NS1_11comp_targetILNS1_3genE9ELNS1_11target_archE1100ELNS1_3gpuE3ELNS1_3repE0EEENS1_30default_config_static_selectorELNS0_4arch9wavefront6targetE0EEEvSP_: ; @_ZN7rocprim17ROCPRIM_400000_NS6detail17trampoline_kernelINS0_14default_configENS1_22reduce_config_selectorImEEZNS1_11reduce_implILb1ES3_N6thrust23THRUST_200600_302600_NS11hip_rocprim35transform_pair_of_input_iterators_tImNS8_6detail15normal_iteratorINS8_10device_ptrIiEEEESF_NS8_12not_equal_toIiEEEEPmmNS8_4plusImEEEE10hipError_tPvRmT1_T2_T3_mT4_P12ihipStream_tbEUlT_E0_NS1_11comp_targetILNS1_3genE9ELNS1_11target_archE1100ELNS1_3gpuE3ELNS1_3repE0EEENS1_30default_config_static_selectorELNS0_4arch9wavefront6targetE0EEEvSP_
; %bb.0:
	.section	.rodata,"a",@progbits
	.p2align	6, 0x0
	.amdhsa_kernel _ZN7rocprim17ROCPRIM_400000_NS6detail17trampoline_kernelINS0_14default_configENS1_22reduce_config_selectorImEEZNS1_11reduce_implILb1ES3_N6thrust23THRUST_200600_302600_NS11hip_rocprim35transform_pair_of_input_iterators_tImNS8_6detail15normal_iteratorINS8_10device_ptrIiEEEESF_NS8_12not_equal_toIiEEEEPmmNS8_4plusImEEEE10hipError_tPvRmT1_T2_T3_mT4_P12ihipStream_tbEUlT_E0_NS1_11comp_targetILNS1_3genE9ELNS1_11target_archE1100ELNS1_3gpuE3ELNS1_3repE0EEENS1_30default_config_static_selectorELNS0_4arch9wavefront6targetE0EEEvSP_
		.amdhsa_group_segment_fixed_size 0
		.amdhsa_private_segment_fixed_size 0
		.amdhsa_kernarg_size 80
		.amdhsa_user_sgpr_count 6
		.amdhsa_user_sgpr_private_segment_buffer 1
		.amdhsa_user_sgpr_dispatch_ptr 0
		.amdhsa_user_sgpr_queue_ptr 0
		.amdhsa_user_sgpr_kernarg_segment_ptr 1
		.amdhsa_user_sgpr_dispatch_id 0
		.amdhsa_user_sgpr_flat_scratch_init 0
		.amdhsa_user_sgpr_private_segment_size 0
		.amdhsa_wavefront_size32 1
		.amdhsa_uses_dynamic_stack 0
		.amdhsa_system_sgpr_private_segment_wavefront_offset 0
		.amdhsa_system_sgpr_workgroup_id_x 1
		.amdhsa_system_sgpr_workgroup_id_y 0
		.amdhsa_system_sgpr_workgroup_id_z 0
		.amdhsa_system_sgpr_workgroup_info 0
		.amdhsa_system_vgpr_workitem_id 0
		.amdhsa_next_free_vgpr 1
		.amdhsa_next_free_sgpr 1
		.amdhsa_reserve_vcc 0
		.amdhsa_reserve_flat_scratch 0
		.amdhsa_float_round_mode_32 0
		.amdhsa_float_round_mode_16_64 0
		.amdhsa_float_denorm_mode_32 3
		.amdhsa_float_denorm_mode_16_64 3
		.amdhsa_dx10_clamp 1
		.amdhsa_ieee_mode 1
		.amdhsa_fp16_overflow 0
		.amdhsa_workgroup_processor_mode 1
		.amdhsa_memory_ordered 1
		.amdhsa_forward_progress 1
		.amdhsa_shared_vgpr_count 0
		.amdhsa_exception_fp_ieee_invalid_op 0
		.amdhsa_exception_fp_denorm_src 0
		.amdhsa_exception_fp_ieee_div_zero 0
		.amdhsa_exception_fp_ieee_overflow 0
		.amdhsa_exception_fp_ieee_underflow 0
		.amdhsa_exception_fp_ieee_inexact 0
		.amdhsa_exception_int_div_zero 0
	.end_amdhsa_kernel
	.section	.text._ZN7rocprim17ROCPRIM_400000_NS6detail17trampoline_kernelINS0_14default_configENS1_22reduce_config_selectorImEEZNS1_11reduce_implILb1ES3_N6thrust23THRUST_200600_302600_NS11hip_rocprim35transform_pair_of_input_iterators_tImNS8_6detail15normal_iteratorINS8_10device_ptrIiEEEESF_NS8_12not_equal_toIiEEEEPmmNS8_4plusImEEEE10hipError_tPvRmT1_T2_T3_mT4_P12ihipStream_tbEUlT_E0_NS1_11comp_targetILNS1_3genE9ELNS1_11target_archE1100ELNS1_3gpuE3ELNS1_3repE0EEENS1_30default_config_static_selectorELNS0_4arch9wavefront6targetE0EEEvSP_,"axG",@progbits,_ZN7rocprim17ROCPRIM_400000_NS6detail17trampoline_kernelINS0_14default_configENS1_22reduce_config_selectorImEEZNS1_11reduce_implILb1ES3_N6thrust23THRUST_200600_302600_NS11hip_rocprim35transform_pair_of_input_iterators_tImNS8_6detail15normal_iteratorINS8_10device_ptrIiEEEESF_NS8_12not_equal_toIiEEEEPmmNS8_4plusImEEEE10hipError_tPvRmT1_T2_T3_mT4_P12ihipStream_tbEUlT_E0_NS1_11comp_targetILNS1_3genE9ELNS1_11target_archE1100ELNS1_3gpuE3ELNS1_3repE0EEENS1_30default_config_static_selectorELNS0_4arch9wavefront6targetE0EEEvSP_,comdat
.Lfunc_end45:
	.size	_ZN7rocprim17ROCPRIM_400000_NS6detail17trampoline_kernelINS0_14default_configENS1_22reduce_config_selectorImEEZNS1_11reduce_implILb1ES3_N6thrust23THRUST_200600_302600_NS11hip_rocprim35transform_pair_of_input_iterators_tImNS8_6detail15normal_iteratorINS8_10device_ptrIiEEEESF_NS8_12not_equal_toIiEEEEPmmNS8_4plusImEEEE10hipError_tPvRmT1_T2_T3_mT4_P12ihipStream_tbEUlT_E0_NS1_11comp_targetILNS1_3genE9ELNS1_11target_archE1100ELNS1_3gpuE3ELNS1_3repE0EEENS1_30default_config_static_selectorELNS0_4arch9wavefront6targetE0EEEvSP_, .Lfunc_end45-_ZN7rocprim17ROCPRIM_400000_NS6detail17trampoline_kernelINS0_14default_configENS1_22reduce_config_selectorImEEZNS1_11reduce_implILb1ES3_N6thrust23THRUST_200600_302600_NS11hip_rocprim35transform_pair_of_input_iterators_tImNS8_6detail15normal_iteratorINS8_10device_ptrIiEEEESF_NS8_12not_equal_toIiEEEEPmmNS8_4plusImEEEE10hipError_tPvRmT1_T2_T3_mT4_P12ihipStream_tbEUlT_E0_NS1_11comp_targetILNS1_3genE9ELNS1_11target_archE1100ELNS1_3gpuE3ELNS1_3repE0EEENS1_30default_config_static_selectorELNS0_4arch9wavefront6targetE0EEEvSP_
                                        ; -- End function
	.set _ZN7rocprim17ROCPRIM_400000_NS6detail17trampoline_kernelINS0_14default_configENS1_22reduce_config_selectorImEEZNS1_11reduce_implILb1ES3_N6thrust23THRUST_200600_302600_NS11hip_rocprim35transform_pair_of_input_iterators_tImNS8_6detail15normal_iteratorINS8_10device_ptrIiEEEESF_NS8_12not_equal_toIiEEEEPmmNS8_4plusImEEEE10hipError_tPvRmT1_T2_T3_mT4_P12ihipStream_tbEUlT_E0_NS1_11comp_targetILNS1_3genE9ELNS1_11target_archE1100ELNS1_3gpuE3ELNS1_3repE0EEENS1_30default_config_static_selectorELNS0_4arch9wavefront6targetE0EEEvSP_.num_vgpr, 0
	.set _ZN7rocprim17ROCPRIM_400000_NS6detail17trampoline_kernelINS0_14default_configENS1_22reduce_config_selectorImEEZNS1_11reduce_implILb1ES3_N6thrust23THRUST_200600_302600_NS11hip_rocprim35transform_pair_of_input_iterators_tImNS8_6detail15normal_iteratorINS8_10device_ptrIiEEEESF_NS8_12not_equal_toIiEEEEPmmNS8_4plusImEEEE10hipError_tPvRmT1_T2_T3_mT4_P12ihipStream_tbEUlT_E0_NS1_11comp_targetILNS1_3genE9ELNS1_11target_archE1100ELNS1_3gpuE3ELNS1_3repE0EEENS1_30default_config_static_selectorELNS0_4arch9wavefront6targetE0EEEvSP_.num_agpr, 0
	.set _ZN7rocprim17ROCPRIM_400000_NS6detail17trampoline_kernelINS0_14default_configENS1_22reduce_config_selectorImEEZNS1_11reduce_implILb1ES3_N6thrust23THRUST_200600_302600_NS11hip_rocprim35transform_pair_of_input_iterators_tImNS8_6detail15normal_iteratorINS8_10device_ptrIiEEEESF_NS8_12not_equal_toIiEEEEPmmNS8_4plusImEEEE10hipError_tPvRmT1_T2_T3_mT4_P12ihipStream_tbEUlT_E0_NS1_11comp_targetILNS1_3genE9ELNS1_11target_archE1100ELNS1_3gpuE3ELNS1_3repE0EEENS1_30default_config_static_selectorELNS0_4arch9wavefront6targetE0EEEvSP_.numbered_sgpr, 0
	.set _ZN7rocprim17ROCPRIM_400000_NS6detail17trampoline_kernelINS0_14default_configENS1_22reduce_config_selectorImEEZNS1_11reduce_implILb1ES3_N6thrust23THRUST_200600_302600_NS11hip_rocprim35transform_pair_of_input_iterators_tImNS8_6detail15normal_iteratorINS8_10device_ptrIiEEEESF_NS8_12not_equal_toIiEEEEPmmNS8_4plusImEEEE10hipError_tPvRmT1_T2_T3_mT4_P12ihipStream_tbEUlT_E0_NS1_11comp_targetILNS1_3genE9ELNS1_11target_archE1100ELNS1_3gpuE3ELNS1_3repE0EEENS1_30default_config_static_selectorELNS0_4arch9wavefront6targetE0EEEvSP_.num_named_barrier, 0
	.set _ZN7rocprim17ROCPRIM_400000_NS6detail17trampoline_kernelINS0_14default_configENS1_22reduce_config_selectorImEEZNS1_11reduce_implILb1ES3_N6thrust23THRUST_200600_302600_NS11hip_rocprim35transform_pair_of_input_iterators_tImNS8_6detail15normal_iteratorINS8_10device_ptrIiEEEESF_NS8_12not_equal_toIiEEEEPmmNS8_4plusImEEEE10hipError_tPvRmT1_T2_T3_mT4_P12ihipStream_tbEUlT_E0_NS1_11comp_targetILNS1_3genE9ELNS1_11target_archE1100ELNS1_3gpuE3ELNS1_3repE0EEENS1_30default_config_static_selectorELNS0_4arch9wavefront6targetE0EEEvSP_.private_seg_size, 0
	.set _ZN7rocprim17ROCPRIM_400000_NS6detail17trampoline_kernelINS0_14default_configENS1_22reduce_config_selectorImEEZNS1_11reduce_implILb1ES3_N6thrust23THRUST_200600_302600_NS11hip_rocprim35transform_pair_of_input_iterators_tImNS8_6detail15normal_iteratorINS8_10device_ptrIiEEEESF_NS8_12not_equal_toIiEEEEPmmNS8_4plusImEEEE10hipError_tPvRmT1_T2_T3_mT4_P12ihipStream_tbEUlT_E0_NS1_11comp_targetILNS1_3genE9ELNS1_11target_archE1100ELNS1_3gpuE3ELNS1_3repE0EEENS1_30default_config_static_selectorELNS0_4arch9wavefront6targetE0EEEvSP_.uses_vcc, 0
	.set _ZN7rocprim17ROCPRIM_400000_NS6detail17trampoline_kernelINS0_14default_configENS1_22reduce_config_selectorImEEZNS1_11reduce_implILb1ES3_N6thrust23THRUST_200600_302600_NS11hip_rocprim35transform_pair_of_input_iterators_tImNS8_6detail15normal_iteratorINS8_10device_ptrIiEEEESF_NS8_12not_equal_toIiEEEEPmmNS8_4plusImEEEE10hipError_tPvRmT1_T2_T3_mT4_P12ihipStream_tbEUlT_E0_NS1_11comp_targetILNS1_3genE9ELNS1_11target_archE1100ELNS1_3gpuE3ELNS1_3repE0EEENS1_30default_config_static_selectorELNS0_4arch9wavefront6targetE0EEEvSP_.uses_flat_scratch, 0
	.set _ZN7rocprim17ROCPRIM_400000_NS6detail17trampoline_kernelINS0_14default_configENS1_22reduce_config_selectorImEEZNS1_11reduce_implILb1ES3_N6thrust23THRUST_200600_302600_NS11hip_rocprim35transform_pair_of_input_iterators_tImNS8_6detail15normal_iteratorINS8_10device_ptrIiEEEESF_NS8_12not_equal_toIiEEEEPmmNS8_4plusImEEEE10hipError_tPvRmT1_T2_T3_mT4_P12ihipStream_tbEUlT_E0_NS1_11comp_targetILNS1_3genE9ELNS1_11target_archE1100ELNS1_3gpuE3ELNS1_3repE0EEENS1_30default_config_static_selectorELNS0_4arch9wavefront6targetE0EEEvSP_.has_dyn_sized_stack, 0
	.set _ZN7rocprim17ROCPRIM_400000_NS6detail17trampoline_kernelINS0_14default_configENS1_22reduce_config_selectorImEEZNS1_11reduce_implILb1ES3_N6thrust23THRUST_200600_302600_NS11hip_rocprim35transform_pair_of_input_iterators_tImNS8_6detail15normal_iteratorINS8_10device_ptrIiEEEESF_NS8_12not_equal_toIiEEEEPmmNS8_4plusImEEEE10hipError_tPvRmT1_T2_T3_mT4_P12ihipStream_tbEUlT_E0_NS1_11comp_targetILNS1_3genE9ELNS1_11target_archE1100ELNS1_3gpuE3ELNS1_3repE0EEENS1_30default_config_static_selectorELNS0_4arch9wavefront6targetE0EEEvSP_.has_recursion, 0
	.set _ZN7rocprim17ROCPRIM_400000_NS6detail17trampoline_kernelINS0_14default_configENS1_22reduce_config_selectorImEEZNS1_11reduce_implILb1ES3_N6thrust23THRUST_200600_302600_NS11hip_rocprim35transform_pair_of_input_iterators_tImNS8_6detail15normal_iteratorINS8_10device_ptrIiEEEESF_NS8_12not_equal_toIiEEEEPmmNS8_4plusImEEEE10hipError_tPvRmT1_T2_T3_mT4_P12ihipStream_tbEUlT_E0_NS1_11comp_targetILNS1_3genE9ELNS1_11target_archE1100ELNS1_3gpuE3ELNS1_3repE0EEENS1_30default_config_static_selectorELNS0_4arch9wavefront6targetE0EEEvSP_.has_indirect_call, 0
	.section	.AMDGPU.csdata,"",@progbits
; Kernel info:
; codeLenInByte = 0
; TotalNumSgprs: 0
; NumVgprs: 0
; ScratchSize: 0
; MemoryBound: 0
; FloatMode: 240
; IeeeMode: 1
; LDSByteSize: 0 bytes/workgroup (compile time only)
; SGPRBlocks: 0
; VGPRBlocks: 0
; NumSGPRsForWavesPerEU: 1
; NumVGPRsForWavesPerEU: 1
; Occupancy: 16
; WaveLimiterHint : 0
; COMPUTE_PGM_RSRC2:SCRATCH_EN: 0
; COMPUTE_PGM_RSRC2:USER_SGPR: 6
; COMPUTE_PGM_RSRC2:TRAP_HANDLER: 0
; COMPUTE_PGM_RSRC2:TGID_X_EN: 1
; COMPUTE_PGM_RSRC2:TGID_Y_EN: 0
; COMPUTE_PGM_RSRC2:TGID_Z_EN: 0
; COMPUTE_PGM_RSRC2:TIDIG_COMP_CNT: 0
	.section	.text._ZN7rocprim17ROCPRIM_400000_NS6detail17trampoline_kernelINS0_14default_configENS1_22reduce_config_selectorImEEZNS1_11reduce_implILb1ES3_N6thrust23THRUST_200600_302600_NS11hip_rocprim35transform_pair_of_input_iterators_tImNS8_6detail15normal_iteratorINS8_10device_ptrIiEEEESF_NS8_12not_equal_toIiEEEEPmmNS8_4plusImEEEE10hipError_tPvRmT1_T2_T3_mT4_P12ihipStream_tbEUlT_E0_NS1_11comp_targetILNS1_3genE8ELNS1_11target_archE1030ELNS1_3gpuE2ELNS1_3repE0EEENS1_30default_config_static_selectorELNS0_4arch9wavefront6targetE0EEEvSP_,"axG",@progbits,_ZN7rocprim17ROCPRIM_400000_NS6detail17trampoline_kernelINS0_14default_configENS1_22reduce_config_selectorImEEZNS1_11reduce_implILb1ES3_N6thrust23THRUST_200600_302600_NS11hip_rocprim35transform_pair_of_input_iterators_tImNS8_6detail15normal_iteratorINS8_10device_ptrIiEEEESF_NS8_12not_equal_toIiEEEEPmmNS8_4plusImEEEE10hipError_tPvRmT1_T2_T3_mT4_P12ihipStream_tbEUlT_E0_NS1_11comp_targetILNS1_3genE8ELNS1_11target_archE1030ELNS1_3gpuE2ELNS1_3repE0EEENS1_30default_config_static_selectorELNS0_4arch9wavefront6targetE0EEEvSP_,comdat
	.protected	_ZN7rocprim17ROCPRIM_400000_NS6detail17trampoline_kernelINS0_14default_configENS1_22reduce_config_selectorImEEZNS1_11reduce_implILb1ES3_N6thrust23THRUST_200600_302600_NS11hip_rocprim35transform_pair_of_input_iterators_tImNS8_6detail15normal_iteratorINS8_10device_ptrIiEEEESF_NS8_12not_equal_toIiEEEEPmmNS8_4plusImEEEE10hipError_tPvRmT1_T2_T3_mT4_P12ihipStream_tbEUlT_E0_NS1_11comp_targetILNS1_3genE8ELNS1_11target_archE1030ELNS1_3gpuE2ELNS1_3repE0EEENS1_30default_config_static_selectorELNS0_4arch9wavefront6targetE0EEEvSP_ ; -- Begin function _ZN7rocprim17ROCPRIM_400000_NS6detail17trampoline_kernelINS0_14default_configENS1_22reduce_config_selectorImEEZNS1_11reduce_implILb1ES3_N6thrust23THRUST_200600_302600_NS11hip_rocprim35transform_pair_of_input_iterators_tImNS8_6detail15normal_iteratorINS8_10device_ptrIiEEEESF_NS8_12not_equal_toIiEEEEPmmNS8_4plusImEEEE10hipError_tPvRmT1_T2_T3_mT4_P12ihipStream_tbEUlT_E0_NS1_11comp_targetILNS1_3genE8ELNS1_11target_archE1030ELNS1_3gpuE2ELNS1_3repE0EEENS1_30default_config_static_selectorELNS0_4arch9wavefront6targetE0EEEvSP_
	.globl	_ZN7rocprim17ROCPRIM_400000_NS6detail17trampoline_kernelINS0_14default_configENS1_22reduce_config_selectorImEEZNS1_11reduce_implILb1ES3_N6thrust23THRUST_200600_302600_NS11hip_rocprim35transform_pair_of_input_iterators_tImNS8_6detail15normal_iteratorINS8_10device_ptrIiEEEESF_NS8_12not_equal_toIiEEEEPmmNS8_4plusImEEEE10hipError_tPvRmT1_T2_T3_mT4_P12ihipStream_tbEUlT_E0_NS1_11comp_targetILNS1_3genE8ELNS1_11target_archE1030ELNS1_3gpuE2ELNS1_3repE0EEENS1_30default_config_static_selectorELNS0_4arch9wavefront6targetE0EEEvSP_
	.p2align	8
	.type	_ZN7rocprim17ROCPRIM_400000_NS6detail17trampoline_kernelINS0_14default_configENS1_22reduce_config_selectorImEEZNS1_11reduce_implILb1ES3_N6thrust23THRUST_200600_302600_NS11hip_rocprim35transform_pair_of_input_iterators_tImNS8_6detail15normal_iteratorINS8_10device_ptrIiEEEESF_NS8_12not_equal_toIiEEEEPmmNS8_4plusImEEEE10hipError_tPvRmT1_T2_T3_mT4_P12ihipStream_tbEUlT_E0_NS1_11comp_targetILNS1_3genE8ELNS1_11target_archE1030ELNS1_3gpuE2ELNS1_3repE0EEENS1_30default_config_static_selectorELNS0_4arch9wavefront6targetE0EEEvSP_,@function
_ZN7rocprim17ROCPRIM_400000_NS6detail17trampoline_kernelINS0_14default_configENS1_22reduce_config_selectorImEEZNS1_11reduce_implILb1ES3_N6thrust23THRUST_200600_302600_NS11hip_rocprim35transform_pair_of_input_iterators_tImNS8_6detail15normal_iteratorINS8_10device_ptrIiEEEESF_NS8_12not_equal_toIiEEEEPmmNS8_4plusImEEEE10hipError_tPvRmT1_T2_T3_mT4_P12ihipStream_tbEUlT_E0_NS1_11comp_targetILNS1_3genE8ELNS1_11target_archE1030ELNS1_3gpuE2ELNS1_3repE0EEENS1_30default_config_static_selectorELNS0_4arch9wavefront6targetE0EEEvSP_: ; @_ZN7rocprim17ROCPRIM_400000_NS6detail17trampoline_kernelINS0_14default_configENS1_22reduce_config_selectorImEEZNS1_11reduce_implILb1ES3_N6thrust23THRUST_200600_302600_NS11hip_rocprim35transform_pair_of_input_iterators_tImNS8_6detail15normal_iteratorINS8_10device_ptrIiEEEESF_NS8_12not_equal_toIiEEEEPmmNS8_4plusImEEEE10hipError_tPvRmT1_T2_T3_mT4_P12ihipStream_tbEUlT_E0_NS1_11comp_targetILNS1_3genE8ELNS1_11target_archE1030ELNS1_3gpuE2ELNS1_3repE0EEENS1_30default_config_static_selectorELNS0_4arch9wavefront6targetE0EEEvSP_
; %bb.0:
	s_clause 0x2
	s_load_dwordx8 s[8:15], s[4:5], 0x18
	s_load_dwordx4 s[16:19], s[4:5], 0x0
	s_load_dwordx4 s[0:3], s[4:5], 0x38
	s_mov_b32 s5, 0
	v_mbcnt_lo_u32_b32 v3, -1, 0
	s_mov_b32 s7, s5
	s_waitcnt lgkmcnt(0)
	s_lshl_b64 s[8:9], s[8:9], 2
	s_add_u32 s16, s16, s8
	s_addc_u32 s17, s17, s9
	s_add_u32 s8, s18, s8
	s_addc_u32 s9, s19, s9
	s_lshr_b64 s[18:19], s[10:11], 8
	s_lshl_b32 s4, s6, 8
	s_cmp_lg_u64 s[18:19], s[6:7]
	s_cbranch_scc0 .LBB46_6
; %bb.1:
	s_lshl_b64 s[18:19], s[4:5], 2
	v_lshlrev_b32_e32 v4, 2, v0
	s_add_u32 s20, s16, s18
	s_addc_u32 s21, s17, s19
	s_add_u32 s18, s8, s18
	s_addc_u32 s19, s9, s19
	v_add_co_u32 v1, s20, s20, v4
	v_add_co_u32 v4, s18, s18, v4
	v_add_co_ci_u32_e64 v2, null, s21, 0, s20
	v_add_co_ci_u32_e64 v5, null, s19, 0, s18
	flat_load_dword v1, v[1:2]
	flat_load_dword v2, v[4:5]
	v_mov_b32_e32 v4, 0
	s_waitcnt vmcnt(0) lgkmcnt(0)
	v_cmp_ne_u32_e32 vcc_lo, v1, v2
	v_cndmask_b32_e64 v1, 0, 1, vcc_lo
	v_mov_b32_dpp v2, v1 quad_perm:[1,0,3,2] row_mask:0xf bank_mask:0xf
	v_add_co_u32 v1, s18, v2, v1
	v_mov_b32_dpp v2, v4 quad_perm:[1,0,3,2] row_mask:0xf bank_mask:0xf
	v_add_co_ci_u32_e64 v5, null, 0, 0, s18
	v_mov_b32_dpp v6, v1 quad_perm:[2,3,0,1] row_mask:0xf bank_mask:0xf
	v_add_co_u32 v1, vcc_lo, 0, v1
	v_add_co_ci_u32_e64 v2, null, v2, v5, vcc_lo
	s_mov_b32 s18, exec_lo
	v_add_co_u32 v1, vcc_lo, v1, v6
	v_mov_b32_dpp v5, v2 quad_perm:[2,3,0,1] row_mask:0xf bank_mask:0xf
	v_add_co_ci_u32_e64 v2, null, 0, v2, vcc_lo
	v_mov_b32_dpp v6, v1 row_ror:4 row_mask:0xf bank_mask:0xf
	v_add_co_u32 v1, vcc_lo, v1, 0
	v_add_co_ci_u32_e64 v2, null, v2, v5, vcc_lo
	v_add_co_u32 v1, vcc_lo, v1, v6
	v_mov_b32_dpp v5, v2 row_ror:4 row_mask:0xf bank_mask:0xf
	v_add_co_ci_u32_e64 v2, null, 0, v2, vcc_lo
	v_mov_b32_dpp v6, v1 row_ror:8 row_mask:0xf bank_mask:0xf
	v_add_co_u32 v1, vcc_lo, v1, 0
	v_add_co_ci_u32_e64 v2, null, v2, v5, vcc_lo
	v_add_co_u32 v1, vcc_lo, v1, v6
	v_mov_b32_dpp v5, v2 row_ror:8 row_mask:0xf bank_mask:0xf
	v_add_co_ci_u32_e64 v2, null, 0, v2, vcc_lo
	ds_swizzle_b32 v6, v1 offset:swizzle(BROADCAST,32,15)
	v_add_co_u32 v1, vcc_lo, v1, 0
	v_add_co_ci_u32_e64 v2, null, v2, v5, vcc_lo
	ds_swizzle_b32 v5, v2 offset:swizzle(BROADCAST,32,15)
	s_waitcnt lgkmcnt(1)
	v_add_co_u32 v1, vcc_lo, v1, v6
	v_add_co_ci_u32_e64 v2, null, 0, v2, vcc_lo
	ds_bpermute_b32 v1, v4, v1 offset:124
	s_waitcnt lgkmcnt(1)
	v_add_nc_u32_e32 v2, v5, v2
	ds_bpermute_b32 v2, v4, v2 offset:124
	v_cmpx_eq_u32_e32 0, v3
	s_cbranch_execz .LBB46_3
; %bb.2:
	v_lshrrev_b32_e32 v4, 2, v0
	v_and_b32_e32 v4, 56, v4
	s_waitcnt lgkmcnt(0)
	ds_write_b64 v4, v[1:2]
.LBB46_3:
	s_or_b32 exec_lo, exec_lo, s18
	s_mov_b32 s18, exec_lo
	s_waitcnt lgkmcnt(0)
	s_barrier
	buffer_gl0_inv
	v_cmpx_gt_u32_e32 32, v0
	s_cbranch_execz .LBB46_5
; %bb.4:
	v_and_b32_e32 v4, 7, v3
	v_lshlrev_b32_e32 v1, 3, v4
	v_cmp_ne_u32_e32 vcc_lo, 7, v4
	ds_read_b64 v[1:2], v1
	v_add_co_ci_u32_e64 v5, null, 0, v3, vcc_lo
	v_cmp_gt_u32_e32 vcc_lo, 6, v4
	v_lshlrev_b32_e32 v5, 2, v5
	v_cndmask_b32_e64 v4, 0, 2, vcc_lo
	v_add_lshl_u32 v4, v4, v3, 2
	s_waitcnt lgkmcnt(0)
	ds_bpermute_b32 v6, v5, v1
	ds_bpermute_b32 v5, v5, v2
	s_waitcnt lgkmcnt(1)
	v_add_co_u32 v1, vcc_lo, v1, v6
	v_add_co_ci_u32_e64 v2, null, 0, v2, vcc_lo
	ds_bpermute_b32 v6, v4, v1
	v_add_co_u32 v1, vcc_lo, 0, v1
	s_waitcnt lgkmcnt(1)
	v_add_co_ci_u32_e64 v2, null, v5, v2, vcc_lo
	v_lshlrev_b32_e32 v5, 2, v3
	ds_bpermute_b32 v4, v4, v2
	v_or_b32_e32 v5, 16, v5
	s_waitcnt lgkmcnt(1)
	v_add_co_u32 v1, vcc_lo, v1, v6
	v_add_co_ci_u32_e64 v2, null, 0, v2, vcc_lo
	ds_bpermute_b32 v6, v5, v1
	v_add_co_u32 v1, vcc_lo, v1, 0
	s_waitcnt lgkmcnt(1)
	v_add_co_ci_u32_e64 v2, null, v2, v4, vcc_lo
	ds_bpermute_b32 v4, v5, v2
	s_waitcnt lgkmcnt(1)
	v_add_co_u32 v1, vcc_lo, v1, v6
	v_add_co_ci_u32_e64 v2, null, 0, v2, vcc_lo
	v_add_co_u32 v1, vcc_lo, v1, 0
	s_waitcnt lgkmcnt(0)
	v_add_co_ci_u32_e64 v2, null, v2, v4, vcc_lo
.LBB46_5:
	s_or_b32 exec_lo, exec_lo, s18
	s_branch .LBB46_30
.LBB46_6:
                                        ; implicit-def: $vgpr1_vgpr2
	s_cbranch_execz .LBB46_30
; %bb.7:
	s_sub_i32 s18, s10, s4
	s_mov_b32 s19, exec_lo
                                        ; implicit-def: $vgpr1_vgpr2
	v_cmpx_gt_u32_e64 s18, v0
	s_cbranch_execz .LBB46_9
; %bb.8:
	s_lshl_b64 s[4:5], s[4:5], 2
	v_lshlrev_b32_e32 v4, 2, v0
	s_add_u32 s16, s16, s4
	s_addc_u32 s17, s17, s5
	s_add_u32 s4, s8, s4
	s_addc_u32 s5, s9, s5
	v_add_co_u32 v1, s16, s16, v4
	v_add_co_u32 v4, s4, s4, v4
	v_add_co_ci_u32_e64 v2, null, s17, 0, s16
	v_add_co_ci_u32_e64 v5, null, s5, 0, s4
	flat_load_dword v1, v[1:2]
	flat_load_dword v2, v[4:5]
	s_mov_b32 s4, 0
	s_waitcnt vmcnt(0) lgkmcnt(0)
	v_cmp_ne_u32_e32 vcc_lo, v1, v2
	v_mov_b32_e32 v2, s4
	v_cndmask_b32_e64 v1, 0, 1, vcc_lo
.LBB46_9:
	s_or_b32 exec_lo, exec_lo, s19
	v_cmp_ne_u32_e32 vcc_lo, 31, v3
	s_min_u32 s4, s18, 0x100
	v_add_nc_u32_e32 v6, 1, v3
	v_add_co_ci_u32_e64 v4, null, 0, v3, vcc_lo
	v_lshlrev_b32_e32 v4, 2, v4
	ds_bpermute_b32 v7, v4, v1
	ds_bpermute_b32 v5, v4, v2
	v_and_b32_e32 v4, 0xe0, v0
	v_sub_nc_u32_e64 v4, s4, v4 clamp
	v_cmp_lt_u32_e32 vcc_lo, v6, v4
	v_mov_b32_e32 v6, v1
	s_and_saveexec_b32 s5, vcc_lo
	s_cbranch_execz .LBB46_11
; %bb.10:
	s_waitcnt lgkmcnt(1)
	v_add_co_u32 v6, vcc_lo, v1, v7
	v_add_co_ci_u32_e64 v2, null, 0, v2, vcc_lo
	v_add_co_u32 v1, vcc_lo, 0, v6
	s_waitcnt lgkmcnt(0)
	v_add_co_ci_u32_e64 v2, null, v5, v2, vcc_lo
.LBB46_11:
	s_or_b32 exec_lo, exec_lo, s5
	v_cmp_gt_u32_e32 vcc_lo, 30, v3
	v_add_nc_u32_e32 v8, 2, v3
	s_mov_b32 s5, exec_lo
	s_waitcnt lgkmcnt(0)
	v_cndmask_b32_e64 v5, 0, 2, vcc_lo
	v_add_lshl_u32 v5, v5, v3, 2
	ds_bpermute_b32 v7, v5, v6
	ds_bpermute_b32 v5, v5, v2
	v_cmpx_lt_u32_e64 v8, v4
	s_cbranch_execz .LBB46_13
; %bb.12:
	s_waitcnt lgkmcnt(1)
	v_add_co_u32 v6, vcc_lo, v1, v7
	v_add_co_ci_u32_e64 v2, null, 0, v2, vcc_lo
	v_add_co_u32 v1, vcc_lo, 0, v6
	s_waitcnt lgkmcnt(0)
	v_add_co_ci_u32_e64 v2, null, v5, v2, vcc_lo
.LBB46_13:
	s_or_b32 exec_lo, exec_lo, s5
	v_cmp_gt_u32_e32 vcc_lo, 28, v3
	v_add_nc_u32_e32 v8, 4, v3
	s_mov_b32 s5, exec_lo
	s_waitcnt lgkmcnt(0)
	v_cndmask_b32_e64 v5, 0, 4, vcc_lo
	v_add_lshl_u32 v5, v5, v3, 2
	ds_bpermute_b32 v7, v5, v6
	ds_bpermute_b32 v5, v5, v2
	v_cmpx_lt_u32_e64 v8, v4
	;; [unrolled: 19-line block ×3, first 2 shown]
	s_cbranch_execz .LBB46_17
; %bb.16:
	s_waitcnt lgkmcnt(1)
	v_add_co_u32 v6, vcc_lo, v1, v7
	v_add_co_ci_u32_e64 v2, null, 0, v2, vcc_lo
	v_add_co_u32 v1, vcc_lo, 0, v6
	s_waitcnt lgkmcnt(0)
	v_add_co_ci_u32_e64 v2, null, v5, v2, vcc_lo
.LBB46_17:
	s_or_b32 exec_lo, exec_lo, s5
	s_waitcnt lgkmcnt(0)
	v_lshlrev_b32_e32 v5, 2, v3
	s_mov_b32 s5, exec_lo
	v_or_b32_e32 v8, 64, v5
	ds_bpermute_b32 v7, v8, v6
	ds_bpermute_b32 v6, v8, v2
	v_add_nc_u32_e32 v8, 16, v3
	v_cmpx_lt_u32_e64 v8, v4
	s_cbranch_execz .LBB46_19
; %bb.18:
	s_waitcnt lgkmcnt(1)
	v_add_co_u32 v1, vcc_lo, v1, v7
	v_add_co_ci_u32_e64 v2, null, 0, v2, vcc_lo
	v_add_co_u32 v1, vcc_lo, v1, 0
	s_waitcnt lgkmcnt(0)
	v_add_co_ci_u32_e64 v2, null, v2, v6, vcc_lo
.LBB46_19:
	s_or_b32 exec_lo, exec_lo, s5
	s_mov_b32 s5, exec_lo
	v_cmpx_eq_u32_e32 0, v3
; %bb.20:
	v_lshrrev_b32_e32 v4, 2, v0
	v_and_b32_e32 v4, 56, v4
	ds_write_b64 v4, v[1:2] offset:64
; %bb.21:
	s_or_b32 exec_lo, exec_lo, s5
	s_mov_b32 s5, exec_lo
	s_waitcnt lgkmcnt(0)
	s_barrier
	buffer_gl0_inv
	v_cmpx_gt_u32_e32 8, v0
	s_cbranch_execz .LBB46_29
; %bb.22:
	v_lshlrev_b32_e32 v1, 3, v3
	v_and_b32_e32 v4, 7, v3
	s_add_i32 s4, s4, 31
	s_lshr_b32 s4, s4, 5
	ds_read_b64 v[1:2], v1 offset:64
	v_cmp_ne_u32_e32 vcc_lo, 7, v4
	v_add_co_ci_u32_e64 v6, null, 0, v3, vcc_lo
	v_lshlrev_b32_e32 v6, 2, v6
	s_waitcnt lgkmcnt(0)
	ds_bpermute_b32 v8, v6, v1
	ds_bpermute_b32 v7, v6, v2
	v_add_nc_u32_e32 v6, 1, v4
	v_cmp_gt_u32_e32 vcc_lo, s4, v6
	v_mov_b32_e32 v6, v1
	s_and_saveexec_b32 s8, vcc_lo
	s_cbranch_execz .LBB46_24
; %bb.23:
	s_waitcnt lgkmcnt(1)
	v_add_co_u32 v6, vcc_lo, v1, v8
	v_add_co_ci_u32_e64 v2, null, 0, v2, vcc_lo
	v_add_co_u32 v1, vcc_lo, 0, v6
	s_waitcnt lgkmcnt(0)
	v_add_co_ci_u32_e64 v2, null, v7, v2, vcc_lo
.LBB46_24:
	s_or_b32 exec_lo, exec_lo, s8
	v_cmp_gt_u32_e32 vcc_lo, 6, v4
	s_waitcnt lgkmcnt(1)
	v_add_nc_u32_e32 v8, 2, v4
	s_mov_b32 s8, exec_lo
	s_waitcnt lgkmcnt(0)
	v_cndmask_b32_e64 v7, 0, 2, vcc_lo
	v_add_lshl_u32 v3, v7, v3, 2
	ds_bpermute_b32 v7, v3, v6
	ds_bpermute_b32 v3, v3, v2
	v_cmpx_gt_u32_e64 s4, v8
	s_cbranch_execz .LBB46_26
; %bb.25:
	s_waitcnt lgkmcnt(1)
	v_add_co_u32 v6, vcc_lo, v1, v7
	v_add_co_ci_u32_e64 v2, null, 0, v2, vcc_lo
	v_add_co_u32 v1, vcc_lo, 0, v6
	s_waitcnt lgkmcnt(0)
	v_add_co_ci_u32_e64 v2, null, v3, v2, vcc_lo
.LBB46_26:
	s_or_b32 exec_lo, exec_lo, s8
	s_waitcnt lgkmcnt(0)
	v_or_b32_e32 v3, 16, v5
	v_add_nc_u32_e32 v4, 4, v4
	ds_bpermute_b32 v5, v3, v6
	ds_bpermute_b32 v3, v3, v2
	v_cmp_gt_u32_e32 vcc_lo, s4, v4
	s_and_saveexec_b32 s4, vcc_lo
	s_cbranch_execz .LBB46_28
; %bb.27:
	s_waitcnt lgkmcnt(1)
	v_add_co_u32 v1, vcc_lo, v1, v5
	v_add_co_ci_u32_e64 v2, null, 0, v2, vcc_lo
	v_add_co_u32 v1, vcc_lo, v1, 0
	s_waitcnt lgkmcnt(0)
	v_add_co_ci_u32_e64 v2, null, v2, v3, vcc_lo
.LBB46_28:
	s_or_b32 exec_lo, exec_lo, s4
.LBB46_29:
	s_or_b32 exec_lo, exec_lo, s5
.LBB46_30:
	s_mov_b32 s4, exec_lo
	v_cmpx_eq_u32_e32 0, v0
	s_cbranch_execz .LBB46_32
; %bb.31:
	s_mul_i32 s4, s0, s15
	s_mul_hi_u32 s5, s0, s14
	s_mul_i32 s1, s1, s14
	s_add_i32 s4, s5, s4
	s_mul_i32 s0, s0, s14
	s_add_i32 s1, s4, s1
	v_mov_b32_e32 v0, 0
	s_lshl_b64 s[0:1], s[0:1], 3
	s_add_u32 s4, s12, s0
	s_addc_u32 s5, s13, s1
	s_cmp_eq_u64 s[10:11], 0
	s_cselect_b32 s8, -1, 0
	s_lshl_b64 s[0:1], s[6:7], 3
	v_cndmask_b32_e64 v2, v2, s3, s8
	v_cndmask_b32_e64 v1, v1, s2, s8
	s_add_u32 s0, s4, s0
	s_addc_u32 s1, s5, s1
	global_store_dwordx2 v0, v[1:2], s[0:1]
.LBB46_32:
	s_endpgm
	.section	.rodata,"a",@progbits
	.p2align	6, 0x0
	.amdhsa_kernel _ZN7rocprim17ROCPRIM_400000_NS6detail17trampoline_kernelINS0_14default_configENS1_22reduce_config_selectorImEEZNS1_11reduce_implILb1ES3_N6thrust23THRUST_200600_302600_NS11hip_rocprim35transform_pair_of_input_iterators_tImNS8_6detail15normal_iteratorINS8_10device_ptrIiEEEESF_NS8_12not_equal_toIiEEEEPmmNS8_4plusImEEEE10hipError_tPvRmT1_T2_T3_mT4_P12ihipStream_tbEUlT_E0_NS1_11comp_targetILNS1_3genE8ELNS1_11target_archE1030ELNS1_3gpuE2ELNS1_3repE0EEENS1_30default_config_static_selectorELNS0_4arch9wavefront6targetE0EEEvSP_
		.amdhsa_group_segment_fixed_size 128
		.amdhsa_private_segment_fixed_size 0
		.amdhsa_kernarg_size 80
		.amdhsa_user_sgpr_count 6
		.amdhsa_user_sgpr_private_segment_buffer 1
		.amdhsa_user_sgpr_dispatch_ptr 0
		.amdhsa_user_sgpr_queue_ptr 0
		.amdhsa_user_sgpr_kernarg_segment_ptr 1
		.amdhsa_user_sgpr_dispatch_id 0
		.amdhsa_user_sgpr_flat_scratch_init 0
		.amdhsa_user_sgpr_private_segment_size 0
		.amdhsa_wavefront_size32 1
		.amdhsa_uses_dynamic_stack 0
		.amdhsa_system_sgpr_private_segment_wavefront_offset 0
		.amdhsa_system_sgpr_workgroup_id_x 1
		.amdhsa_system_sgpr_workgroup_id_y 0
		.amdhsa_system_sgpr_workgroup_id_z 0
		.amdhsa_system_sgpr_workgroup_info 0
		.amdhsa_system_vgpr_workitem_id 0
		.amdhsa_next_free_vgpr 9
		.amdhsa_next_free_sgpr 22
		.amdhsa_reserve_vcc 1
		.amdhsa_reserve_flat_scratch 0
		.amdhsa_float_round_mode_32 0
		.amdhsa_float_round_mode_16_64 0
		.amdhsa_float_denorm_mode_32 3
		.amdhsa_float_denorm_mode_16_64 3
		.amdhsa_dx10_clamp 1
		.amdhsa_ieee_mode 1
		.amdhsa_fp16_overflow 0
		.amdhsa_workgroup_processor_mode 1
		.amdhsa_memory_ordered 1
		.amdhsa_forward_progress 1
		.amdhsa_shared_vgpr_count 0
		.amdhsa_exception_fp_ieee_invalid_op 0
		.amdhsa_exception_fp_denorm_src 0
		.amdhsa_exception_fp_ieee_div_zero 0
		.amdhsa_exception_fp_ieee_overflow 0
		.amdhsa_exception_fp_ieee_underflow 0
		.amdhsa_exception_fp_ieee_inexact 0
		.amdhsa_exception_int_div_zero 0
	.end_amdhsa_kernel
	.section	.text._ZN7rocprim17ROCPRIM_400000_NS6detail17trampoline_kernelINS0_14default_configENS1_22reduce_config_selectorImEEZNS1_11reduce_implILb1ES3_N6thrust23THRUST_200600_302600_NS11hip_rocprim35transform_pair_of_input_iterators_tImNS8_6detail15normal_iteratorINS8_10device_ptrIiEEEESF_NS8_12not_equal_toIiEEEEPmmNS8_4plusImEEEE10hipError_tPvRmT1_T2_T3_mT4_P12ihipStream_tbEUlT_E0_NS1_11comp_targetILNS1_3genE8ELNS1_11target_archE1030ELNS1_3gpuE2ELNS1_3repE0EEENS1_30default_config_static_selectorELNS0_4arch9wavefront6targetE0EEEvSP_,"axG",@progbits,_ZN7rocprim17ROCPRIM_400000_NS6detail17trampoline_kernelINS0_14default_configENS1_22reduce_config_selectorImEEZNS1_11reduce_implILb1ES3_N6thrust23THRUST_200600_302600_NS11hip_rocprim35transform_pair_of_input_iterators_tImNS8_6detail15normal_iteratorINS8_10device_ptrIiEEEESF_NS8_12not_equal_toIiEEEEPmmNS8_4plusImEEEE10hipError_tPvRmT1_T2_T3_mT4_P12ihipStream_tbEUlT_E0_NS1_11comp_targetILNS1_3genE8ELNS1_11target_archE1030ELNS1_3gpuE2ELNS1_3repE0EEENS1_30default_config_static_selectorELNS0_4arch9wavefront6targetE0EEEvSP_,comdat
.Lfunc_end46:
	.size	_ZN7rocprim17ROCPRIM_400000_NS6detail17trampoline_kernelINS0_14default_configENS1_22reduce_config_selectorImEEZNS1_11reduce_implILb1ES3_N6thrust23THRUST_200600_302600_NS11hip_rocprim35transform_pair_of_input_iterators_tImNS8_6detail15normal_iteratorINS8_10device_ptrIiEEEESF_NS8_12not_equal_toIiEEEEPmmNS8_4plusImEEEE10hipError_tPvRmT1_T2_T3_mT4_P12ihipStream_tbEUlT_E0_NS1_11comp_targetILNS1_3genE8ELNS1_11target_archE1030ELNS1_3gpuE2ELNS1_3repE0EEENS1_30default_config_static_selectorELNS0_4arch9wavefront6targetE0EEEvSP_, .Lfunc_end46-_ZN7rocprim17ROCPRIM_400000_NS6detail17trampoline_kernelINS0_14default_configENS1_22reduce_config_selectorImEEZNS1_11reduce_implILb1ES3_N6thrust23THRUST_200600_302600_NS11hip_rocprim35transform_pair_of_input_iterators_tImNS8_6detail15normal_iteratorINS8_10device_ptrIiEEEESF_NS8_12not_equal_toIiEEEEPmmNS8_4plusImEEEE10hipError_tPvRmT1_T2_T3_mT4_P12ihipStream_tbEUlT_E0_NS1_11comp_targetILNS1_3genE8ELNS1_11target_archE1030ELNS1_3gpuE2ELNS1_3repE0EEENS1_30default_config_static_selectorELNS0_4arch9wavefront6targetE0EEEvSP_
                                        ; -- End function
	.set _ZN7rocprim17ROCPRIM_400000_NS6detail17trampoline_kernelINS0_14default_configENS1_22reduce_config_selectorImEEZNS1_11reduce_implILb1ES3_N6thrust23THRUST_200600_302600_NS11hip_rocprim35transform_pair_of_input_iterators_tImNS8_6detail15normal_iteratorINS8_10device_ptrIiEEEESF_NS8_12not_equal_toIiEEEEPmmNS8_4plusImEEEE10hipError_tPvRmT1_T2_T3_mT4_P12ihipStream_tbEUlT_E0_NS1_11comp_targetILNS1_3genE8ELNS1_11target_archE1030ELNS1_3gpuE2ELNS1_3repE0EEENS1_30default_config_static_selectorELNS0_4arch9wavefront6targetE0EEEvSP_.num_vgpr, 9
	.set _ZN7rocprim17ROCPRIM_400000_NS6detail17trampoline_kernelINS0_14default_configENS1_22reduce_config_selectorImEEZNS1_11reduce_implILb1ES3_N6thrust23THRUST_200600_302600_NS11hip_rocprim35transform_pair_of_input_iterators_tImNS8_6detail15normal_iteratorINS8_10device_ptrIiEEEESF_NS8_12not_equal_toIiEEEEPmmNS8_4plusImEEEE10hipError_tPvRmT1_T2_T3_mT4_P12ihipStream_tbEUlT_E0_NS1_11comp_targetILNS1_3genE8ELNS1_11target_archE1030ELNS1_3gpuE2ELNS1_3repE0EEENS1_30default_config_static_selectorELNS0_4arch9wavefront6targetE0EEEvSP_.num_agpr, 0
	.set _ZN7rocprim17ROCPRIM_400000_NS6detail17trampoline_kernelINS0_14default_configENS1_22reduce_config_selectorImEEZNS1_11reduce_implILb1ES3_N6thrust23THRUST_200600_302600_NS11hip_rocprim35transform_pair_of_input_iterators_tImNS8_6detail15normal_iteratorINS8_10device_ptrIiEEEESF_NS8_12not_equal_toIiEEEEPmmNS8_4plusImEEEE10hipError_tPvRmT1_T2_T3_mT4_P12ihipStream_tbEUlT_E0_NS1_11comp_targetILNS1_3genE8ELNS1_11target_archE1030ELNS1_3gpuE2ELNS1_3repE0EEENS1_30default_config_static_selectorELNS0_4arch9wavefront6targetE0EEEvSP_.numbered_sgpr, 22
	.set _ZN7rocprim17ROCPRIM_400000_NS6detail17trampoline_kernelINS0_14default_configENS1_22reduce_config_selectorImEEZNS1_11reduce_implILb1ES3_N6thrust23THRUST_200600_302600_NS11hip_rocprim35transform_pair_of_input_iterators_tImNS8_6detail15normal_iteratorINS8_10device_ptrIiEEEESF_NS8_12not_equal_toIiEEEEPmmNS8_4plusImEEEE10hipError_tPvRmT1_T2_T3_mT4_P12ihipStream_tbEUlT_E0_NS1_11comp_targetILNS1_3genE8ELNS1_11target_archE1030ELNS1_3gpuE2ELNS1_3repE0EEENS1_30default_config_static_selectorELNS0_4arch9wavefront6targetE0EEEvSP_.num_named_barrier, 0
	.set _ZN7rocprim17ROCPRIM_400000_NS6detail17trampoline_kernelINS0_14default_configENS1_22reduce_config_selectorImEEZNS1_11reduce_implILb1ES3_N6thrust23THRUST_200600_302600_NS11hip_rocprim35transform_pair_of_input_iterators_tImNS8_6detail15normal_iteratorINS8_10device_ptrIiEEEESF_NS8_12not_equal_toIiEEEEPmmNS8_4plusImEEEE10hipError_tPvRmT1_T2_T3_mT4_P12ihipStream_tbEUlT_E0_NS1_11comp_targetILNS1_3genE8ELNS1_11target_archE1030ELNS1_3gpuE2ELNS1_3repE0EEENS1_30default_config_static_selectorELNS0_4arch9wavefront6targetE0EEEvSP_.private_seg_size, 0
	.set _ZN7rocprim17ROCPRIM_400000_NS6detail17trampoline_kernelINS0_14default_configENS1_22reduce_config_selectorImEEZNS1_11reduce_implILb1ES3_N6thrust23THRUST_200600_302600_NS11hip_rocprim35transform_pair_of_input_iterators_tImNS8_6detail15normal_iteratorINS8_10device_ptrIiEEEESF_NS8_12not_equal_toIiEEEEPmmNS8_4plusImEEEE10hipError_tPvRmT1_T2_T3_mT4_P12ihipStream_tbEUlT_E0_NS1_11comp_targetILNS1_3genE8ELNS1_11target_archE1030ELNS1_3gpuE2ELNS1_3repE0EEENS1_30default_config_static_selectorELNS0_4arch9wavefront6targetE0EEEvSP_.uses_vcc, 1
	.set _ZN7rocprim17ROCPRIM_400000_NS6detail17trampoline_kernelINS0_14default_configENS1_22reduce_config_selectorImEEZNS1_11reduce_implILb1ES3_N6thrust23THRUST_200600_302600_NS11hip_rocprim35transform_pair_of_input_iterators_tImNS8_6detail15normal_iteratorINS8_10device_ptrIiEEEESF_NS8_12not_equal_toIiEEEEPmmNS8_4plusImEEEE10hipError_tPvRmT1_T2_T3_mT4_P12ihipStream_tbEUlT_E0_NS1_11comp_targetILNS1_3genE8ELNS1_11target_archE1030ELNS1_3gpuE2ELNS1_3repE0EEENS1_30default_config_static_selectorELNS0_4arch9wavefront6targetE0EEEvSP_.uses_flat_scratch, 0
	.set _ZN7rocprim17ROCPRIM_400000_NS6detail17trampoline_kernelINS0_14default_configENS1_22reduce_config_selectorImEEZNS1_11reduce_implILb1ES3_N6thrust23THRUST_200600_302600_NS11hip_rocprim35transform_pair_of_input_iterators_tImNS8_6detail15normal_iteratorINS8_10device_ptrIiEEEESF_NS8_12not_equal_toIiEEEEPmmNS8_4plusImEEEE10hipError_tPvRmT1_T2_T3_mT4_P12ihipStream_tbEUlT_E0_NS1_11comp_targetILNS1_3genE8ELNS1_11target_archE1030ELNS1_3gpuE2ELNS1_3repE0EEENS1_30default_config_static_selectorELNS0_4arch9wavefront6targetE0EEEvSP_.has_dyn_sized_stack, 0
	.set _ZN7rocprim17ROCPRIM_400000_NS6detail17trampoline_kernelINS0_14default_configENS1_22reduce_config_selectorImEEZNS1_11reduce_implILb1ES3_N6thrust23THRUST_200600_302600_NS11hip_rocprim35transform_pair_of_input_iterators_tImNS8_6detail15normal_iteratorINS8_10device_ptrIiEEEESF_NS8_12not_equal_toIiEEEEPmmNS8_4plusImEEEE10hipError_tPvRmT1_T2_T3_mT4_P12ihipStream_tbEUlT_E0_NS1_11comp_targetILNS1_3genE8ELNS1_11target_archE1030ELNS1_3gpuE2ELNS1_3repE0EEENS1_30default_config_static_selectorELNS0_4arch9wavefront6targetE0EEEvSP_.has_recursion, 0
	.set _ZN7rocprim17ROCPRIM_400000_NS6detail17trampoline_kernelINS0_14default_configENS1_22reduce_config_selectorImEEZNS1_11reduce_implILb1ES3_N6thrust23THRUST_200600_302600_NS11hip_rocprim35transform_pair_of_input_iterators_tImNS8_6detail15normal_iteratorINS8_10device_ptrIiEEEESF_NS8_12not_equal_toIiEEEEPmmNS8_4plusImEEEE10hipError_tPvRmT1_T2_T3_mT4_P12ihipStream_tbEUlT_E0_NS1_11comp_targetILNS1_3genE8ELNS1_11target_archE1030ELNS1_3gpuE2ELNS1_3repE0EEENS1_30default_config_static_selectorELNS0_4arch9wavefront6targetE0EEEvSP_.has_indirect_call, 0
	.section	.AMDGPU.csdata,"",@progbits
; Kernel info:
; codeLenInByte = 1856
; TotalNumSgprs: 24
; NumVgprs: 9
; ScratchSize: 0
; MemoryBound: 0
; FloatMode: 240
; IeeeMode: 1
; LDSByteSize: 128 bytes/workgroup (compile time only)
; SGPRBlocks: 0
; VGPRBlocks: 1
; NumSGPRsForWavesPerEU: 24
; NumVGPRsForWavesPerEU: 9
; Occupancy: 16
; WaveLimiterHint : 0
; COMPUTE_PGM_RSRC2:SCRATCH_EN: 0
; COMPUTE_PGM_RSRC2:USER_SGPR: 6
; COMPUTE_PGM_RSRC2:TRAP_HANDLER: 0
; COMPUTE_PGM_RSRC2:TGID_X_EN: 1
; COMPUTE_PGM_RSRC2:TGID_Y_EN: 0
; COMPUTE_PGM_RSRC2:TGID_Z_EN: 0
; COMPUTE_PGM_RSRC2:TIDIG_COMP_CNT: 0
	.section	.text._ZN7rocprim17ROCPRIM_400000_NS6detail17trampoline_kernelINS0_14default_configENS1_22reduce_config_selectorImEEZNS1_11reduce_implILb1ES3_N6thrust23THRUST_200600_302600_NS11hip_rocprim35transform_pair_of_input_iterators_tImNS8_6detail15normal_iteratorINS8_10device_ptrIiEEEESF_NS8_12not_equal_toIiEEEEPmmNS8_4plusImEEEE10hipError_tPvRmT1_T2_T3_mT4_P12ihipStream_tbEUlT_E1_NS1_11comp_targetILNS1_3genE0ELNS1_11target_archE4294967295ELNS1_3gpuE0ELNS1_3repE0EEENS1_30default_config_static_selectorELNS0_4arch9wavefront6targetE0EEEvSP_,"axG",@progbits,_ZN7rocprim17ROCPRIM_400000_NS6detail17trampoline_kernelINS0_14default_configENS1_22reduce_config_selectorImEEZNS1_11reduce_implILb1ES3_N6thrust23THRUST_200600_302600_NS11hip_rocprim35transform_pair_of_input_iterators_tImNS8_6detail15normal_iteratorINS8_10device_ptrIiEEEESF_NS8_12not_equal_toIiEEEEPmmNS8_4plusImEEEE10hipError_tPvRmT1_T2_T3_mT4_P12ihipStream_tbEUlT_E1_NS1_11comp_targetILNS1_3genE0ELNS1_11target_archE4294967295ELNS1_3gpuE0ELNS1_3repE0EEENS1_30default_config_static_selectorELNS0_4arch9wavefront6targetE0EEEvSP_,comdat
	.protected	_ZN7rocprim17ROCPRIM_400000_NS6detail17trampoline_kernelINS0_14default_configENS1_22reduce_config_selectorImEEZNS1_11reduce_implILb1ES3_N6thrust23THRUST_200600_302600_NS11hip_rocprim35transform_pair_of_input_iterators_tImNS8_6detail15normal_iteratorINS8_10device_ptrIiEEEESF_NS8_12not_equal_toIiEEEEPmmNS8_4plusImEEEE10hipError_tPvRmT1_T2_T3_mT4_P12ihipStream_tbEUlT_E1_NS1_11comp_targetILNS1_3genE0ELNS1_11target_archE4294967295ELNS1_3gpuE0ELNS1_3repE0EEENS1_30default_config_static_selectorELNS0_4arch9wavefront6targetE0EEEvSP_ ; -- Begin function _ZN7rocprim17ROCPRIM_400000_NS6detail17trampoline_kernelINS0_14default_configENS1_22reduce_config_selectorImEEZNS1_11reduce_implILb1ES3_N6thrust23THRUST_200600_302600_NS11hip_rocprim35transform_pair_of_input_iterators_tImNS8_6detail15normal_iteratorINS8_10device_ptrIiEEEESF_NS8_12not_equal_toIiEEEEPmmNS8_4plusImEEEE10hipError_tPvRmT1_T2_T3_mT4_P12ihipStream_tbEUlT_E1_NS1_11comp_targetILNS1_3genE0ELNS1_11target_archE4294967295ELNS1_3gpuE0ELNS1_3repE0EEENS1_30default_config_static_selectorELNS0_4arch9wavefront6targetE0EEEvSP_
	.globl	_ZN7rocprim17ROCPRIM_400000_NS6detail17trampoline_kernelINS0_14default_configENS1_22reduce_config_selectorImEEZNS1_11reduce_implILb1ES3_N6thrust23THRUST_200600_302600_NS11hip_rocprim35transform_pair_of_input_iterators_tImNS8_6detail15normal_iteratorINS8_10device_ptrIiEEEESF_NS8_12not_equal_toIiEEEEPmmNS8_4plusImEEEE10hipError_tPvRmT1_T2_T3_mT4_P12ihipStream_tbEUlT_E1_NS1_11comp_targetILNS1_3genE0ELNS1_11target_archE4294967295ELNS1_3gpuE0ELNS1_3repE0EEENS1_30default_config_static_selectorELNS0_4arch9wavefront6targetE0EEEvSP_
	.p2align	8
	.type	_ZN7rocprim17ROCPRIM_400000_NS6detail17trampoline_kernelINS0_14default_configENS1_22reduce_config_selectorImEEZNS1_11reduce_implILb1ES3_N6thrust23THRUST_200600_302600_NS11hip_rocprim35transform_pair_of_input_iterators_tImNS8_6detail15normal_iteratorINS8_10device_ptrIiEEEESF_NS8_12not_equal_toIiEEEEPmmNS8_4plusImEEEE10hipError_tPvRmT1_T2_T3_mT4_P12ihipStream_tbEUlT_E1_NS1_11comp_targetILNS1_3genE0ELNS1_11target_archE4294967295ELNS1_3gpuE0ELNS1_3repE0EEENS1_30default_config_static_selectorELNS0_4arch9wavefront6targetE0EEEvSP_,@function
_ZN7rocprim17ROCPRIM_400000_NS6detail17trampoline_kernelINS0_14default_configENS1_22reduce_config_selectorImEEZNS1_11reduce_implILb1ES3_N6thrust23THRUST_200600_302600_NS11hip_rocprim35transform_pair_of_input_iterators_tImNS8_6detail15normal_iteratorINS8_10device_ptrIiEEEESF_NS8_12not_equal_toIiEEEEPmmNS8_4plusImEEEE10hipError_tPvRmT1_T2_T3_mT4_P12ihipStream_tbEUlT_E1_NS1_11comp_targetILNS1_3genE0ELNS1_11target_archE4294967295ELNS1_3gpuE0ELNS1_3repE0EEENS1_30default_config_static_selectorELNS0_4arch9wavefront6targetE0EEEvSP_: ; @_ZN7rocprim17ROCPRIM_400000_NS6detail17trampoline_kernelINS0_14default_configENS1_22reduce_config_selectorImEEZNS1_11reduce_implILb1ES3_N6thrust23THRUST_200600_302600_NS11hip_rocprim35transform_pair_of_input_iterators_tImNS8_6detail15normal_iteratorINS8_10device_ptrIiEEEESF_NS8_12not_equal_toIiEEEEPmmNS8_4plusImEEEE10hipError_tPvRmT1_T2_T3_mT4_P12ihipStream_tbEUlT_E1_NS1_11comp_targetILNS1_3genE0ELNS1_11target_archE4294967295ELNS1_3gpuE0ELNS1_3repE0EEENS1_30default_config_static_selectorELNS0_4arch9wavefront6targetE0EEEvSP_
; %bb.0:
	.section	.rodata,"a",@progbits
	.p2align	6, 0x0
	.amdhsa_kernel _ZN7rocprim17ROCPRIM_400000_NS6detail17trampoline_kernelINS0_14default_configENS1_22reduce_config_selectorImEEZNS1_11reduce_implILb1ES3_N6thrust23THRUST_200600_302600_NS11hip_rocprim35transform_pair_of_input_iterators_tImNS8_6detail15normal_iteratorINS8_10device_ptrIiEEEESF_NS8_12not_equal_toIiEEEEPmmNS8_4plusImEEEE10hipError_tPvRmT1_T2_T3_mT4_P12ihipStream_tbEUlT_E1_NS1_11comp_targetILNS1_3genE0ELNS1_11target_archE4294967295ELNS1_3gpuE0ELNS1_3repE0EEENS1_30default_config_static_selectorELNS0_4arch9wavefront6targetE0EEEvSP_
		.amdhsa_group_segment_fixed_size 0
		.amdhsa_private_segment_fixed_size 0
		.amdhsa_kernarg_size 64
		.amdhsa_user_sgpr_count 6
		.amdhsa_user_sgpr_private_segment_buffer 1
		.amdhsa_user_sgpr_dispatch_ptr 0
		.amdhsa_user_sgpr_queue_ptr 0
		.amdhsa_user_sgpr_kernarg_segment_ptr 1
		.amdhsa_user_sgpr_dispatch_id 0
		.amdhsa_user_sgpr_flat_scratch_init 0
		.amdhsa_user_sgpr_private_segment_size 0
		.amdhsa_wavefront_size32 1
		.amdhsa_uses_dynamic_stack 0
		.amdhsa_system_sgpr_private_segment_wavefront_offset 0
		.amdhsa_system_sgpr_workgroup_id_x 1
		.amdhsa_system_sgpr_workgroup_id_y 0
		.amdhsa_system_sgpr_workgroup_id_z 0
		.amdhsa_system_sgpr_workgroup_info 0
		.amdhsa_system_vgpr_workitem_id 0
		.amdhsa_next_free_vgpr 1
		.amdhsa_next_free_sgpr 1
		.amdhsa_reserve_vcc 0
		.amdhsa_reserve_flat_scratch 0
		.amdhsa_float_round_mode_32 0
		.amdhsa_float_round_mode_16_64 0
		.amdhsa_float_denorm_mode_32 3
		.amdhsa_float_denorm_mode_16_64 3
		.amdhsa_dx10_clamp 1
		.amdhsa_ieee_mode 1
		.amdhsa_fp16_overflow 0
		.amdhsa_workgroup_processor_mode 1
		.amdhsa_memory_ordered 1
		.amdhsa_forward_progress 1
		.amdhsa_shared_vgpr_count 0
		.amdhsa_exception_fp_ieee_invalid_op 0
		.amdhsa_exception_fp_denorm_src 0
		.amdhsa_exception_fp_ieee_div_zero 0
		.amdhsa_exception_fp_ieee_overflow 0
		.amdhsa_exception_fp_ieee_underflow 0
		.amdhsa_exception_fp_ieee_inexact 0
		.amdhsa_exception_int_div_zero 0
	.end_amdhsa_kernel
	.section	.text._ZN7rocprim17ROCPRIM_400000_NS6detail17trampoline_kernelINS0_14default_configENS1_22reduce_config_selectorImEEZNS1_11reduce_implILb1ES3_N6thrust23THRUST_200600_302600_NS11hip_rocprim35transform_pair_of_input_iterators_tImNS8_6detail15normal_iteratorINS8_10device_ptrIiEEEESF_NS8_12not_equal_toIiEEEEPmmNS8_4plusImEEEE10hipError_tPvRmT1_T2_T3_mT4_P12ihipStream_tbEUlT_E1_NS1_11comp_targetILNS1_3genE0ELNS1_11target_archE4294967295ELNS1_3gpuE0ELNS1_3repE0EEENS1_30default_config_static_selectorELNS0_4arch9wavefront6targetE0EEEvSP_,"axG",@progbits,_ZN7rocprim17ROCPRIM_400000_NS6detail17trampoline_kernelINS0_14default_configENS1_22reduce_config_selectorImEEZNS1_11reduce_implILb1ES3_N6thrust23THRUST_200600_302600_NS11hip_rocprim35transform_pair_of_input_iterators_tImNS8_6detail15normal_iteratorINS8_10device_ptrIiEEEESF_NS8_12not_equal_toIiEEEEPmmNS8_4plusImEEEE10hipError_tPvRmT1_T2_T3_mT4_P12ihipStream_tbEUlT_E1_NS1_11comp_targetILNS1_3genE0ELNS1_11target_archE4294967295ELNS1_3gpuE0ELNS1_3repE0EEENS1_30default_config_static_selectorELNS0_4arch9wavefront6targetE0EEEvSP_,comdat
.Lfunc_end47:
	.size	_ZN7rocprim17ROCPRIM_400000_NS6detail17trampoline_kernelINS0_14default_configENS1_22reduce_config_selectorImEEZNS1_11reduce_implILb1ES3_N6thrust23THRUST_200600_302600_NS11hip_rocprim35transform_pair_of_input_iterators_tImNS8_6detail15normal_iteratorINS8_10device_ptrIiEEEESF_NS8_12not_equal_toIiEEEEPmmNS8_4plusImEEEE10hipError_tPvRmT1_T2_T3_mT4_P12ihipStream_tbEUlT_E1_NS1_11comp_targetILNS1_3genE0ELNS1_11target_archE4294967295ELNS1_3gpuE0ELNS1_3repE0EEENS1_30default_config_static_selectorELNS0_4arch9wavefront6targetE0EEEvSP_, .Lfunc_end47-_ZN7rocprim17ROCPRIM_400000_NS6detail17trampoline_kernelINS0_14default_configENS1_22reduce_config_selectorImEEZNS1_11reduce_implILb1ES3_N6thrust23THRUST_200600_302600_NS11hip_rocprim35transform_pair_of_input_iterators_tImNS8_6detail15normal_iteratorINS8_10device_ptrIiEEEESF_NS8_12not_equal_toIiEEEEPmmNS8_4plusImEEEE10hipError_tPvRmT1_T2_T3_mT4_P12ihipStream_tbEUlT_E1_NS1_11comp_targetILNS1_3genE0ELNS1_11target_archE4294967295ELNS1_3gpuE0ELNS1_3repE0EEENS1_30default_config_static_selectorELNS0_4arch9wavefront6targetE0EEEvSP_
                                        ; -- End function
	.set _ZN7rocprim17ROCPRIM_400000_NS6detail17trampoline_kernelINS0_14default_configENS1_22reduce_config_selectorImEEZNS1_11reduce_implILb1ES3_N6thrust23THRUST_200600_302600_NS11hip_rocprim35transform_pair_of_input_iterators_tImNS8_6detail15normal_iteratorINS8_10device_ptrIiEEEESF_NS8_12not_equal_toIiEEEEPmmNS8_4plusImEEEE10hipError_tPvRmT1_T2_T3_mT4_P12ihipStream_tbEUlT_E1_NS1_11comp_targetILNS1_3genE0ELNS1_11target_archE4294967295ELNS1_3gpuE0ELNS1_3repE0EEENS1_30default_config_static_selectorELNS0_4arch9wavefront6targetE0EEEvSP_.num_vgpr, 0
	.set _ZN7rocprim17ROCPRIM_400000_NS6detail17trampoline_kernelINS0_14default_configENS1_22reduce_config_selectorImEEZNS1_11reduce_implILb1ES3_N6thrust23THRUST_200600_302600_NS11hip_rocprim35transform_pair_of_input_iterators_tImNS8_6detail15normal_iteratorINS8_10device_ptrIiEEEESF_NS8_12not_equal_toIiEEEEPmmNS8_4plusImEEEE10hipError_tPvRmT1_T2_T3_mT4_P12ihipStream_tbEUlT_E1_NS1_11comp_targetILNS1_3genE0ELNS1_11target_archE4294967295ELNS1_3gpuE0ELNS1_3repE0EEENS1_30default_config_static_selectorELNS0_4arch9wavefront6targetE0EEEvSP_.num_agpr, 0
	.set _ZN7rocprim17ROCPRIM_400000_NS6detail17trampoline_kernelINS0_14default_configENS1_22reduce_config_selectorImEEZNS1_11reduce_implILb1ES3_N6thrust23THRUST_200600_302600_NS11hip_rocprim35transform_pair_of_input_iterators_tImNS8_6detail15normal_iteratorINS8_10device_ptrIiEEEESF_NS8_12not_equal_toIiEEEEPmmNS8_4plusImEEEE10hipError_tPvRmT1_T2_T3_mT4_P12ihipStream_tbEUlT_E1_NS1_11comp_targetILNS1_3genE0ELNS1_11target_archE4294967295ELNS1_3gpuE0ELNS1_3repE0EEENS1_30default_config_static_selectorELNS0_4arch9wavefront6targetE0EEEvSP_.numbered_sgpr, 0
	.set _ZN7rocprim17ROCPRIM_400000_NS6detail17trampoline_kernelINS0_14default_configENS1_22reduce_config_selectorImEEZNS1_11reduce_implILb1ES3_N6thrust23THRUST_200600_302600_NS11hip_rocprim35transform_pair_of_input_iterators_tImNS8_6detail15normal_iteratorINS8_10device_ptrIiEEEESF_NS8_12not_equal_toIiEEEEPmmNS8_4plusImEEEE10hipError_tPvRmT1_T2_T3_mT4_P12ihipStream_tbEUlT_E1_NS1_11comp_targetILNS1_3genE0ELNS1_11target_archE4294967295ELNS1_3gpuE0ELNS1_3repE0EEENS1_30default_config_static_selectorELNS0_4arch9wavefront6targetE0EEEvSP_.num_named_barrier, 0
	.set _ZN7rocprim17ROCPRIM_400000_NS6detail17trampoline_kernelINS0_14default_configENS1_22reduce_config_selectorImEEZNS1_11reduce_implILb1ES3_N6thrust23THRUST_200600_302600_NS11hip_rocprim35transform_pair_of_input_iterators_tImNS8_6detail15normal_iteratorINS8_10device_ptrIiEEEESF_NS8_12not_equal_toIiEEEEPmmNS8_4plusImEEEE10hipError_tPvRmT1_T2_T3_mT4_P12ihipStream_tbEUlT_E1_NS1_11comp_targetILNS1_3genE0ELNS1_11target_archE4294967295ELNS1_3gpuE0ELNS1_3repE0EEENS1_30default_config_static_selectorELNS0_4arch9wavefront6targetE0EEEvSP_.private_seg_size, 0
	.set _ZN7rocprim17ROCPRIM_400000_NS6detail17trampoline_kernelINS0_14default_configENS1_22reduce_config_selectorImEEZNS1_11reduce_implILb1ES3_N6thrust23THRUST_200600_302600_NS11hip_rocprim35transform_pair_of_input_iterators_tImNS8_6detail15normal_iteratorINS8_10device_ptrIiEEEESF_NS8_12not_equal_toIiEEEEPmmNS8_4plusImEEEE10hipError_tPvRmT1_T2_T3_mT4_P12ihipStream_tbEUlT_E1_NS1_11comp_targetILNS1_3genE0ELNS1_11target_archE4294967295ELNS1_3gpuE0ELNS1_3repE0EEENS1_30default_config_static_selectorELNS0_4arch9wavefront6targetE0EEEvSP_.uses_vcc, 0
	.set _ZN7rocprim17ROCPRIM_400000_NS6detail17trampoline_kernelINS0_14default_configENS1_22reduce_config_selectorImEEZNS1_11reduce_implILb1ES3_N6thrust23THRUST_200600_302600_NS11hip_rocprim35transform_pair_of_input_iterators_tImNS8_6detail15normal_iteratorINS8_10device_ptrIiEEEESF_NS8_12not_equal_toIiEEEEPmmNS8_4plusImEEEE10hipError_tPvRmT1_T2_T3_mT4_P12ihipStream_tbEUlT_E1_NS1_11comp_targetILNS1_3genE0ELNS1_11target_archE4294967295ELNS1_3gpuE0ELNS1_3repE0EEENS1_30default_config_static_selectorELNS0_4arch9wavefront6targetE0EEEvSP_.uses_flat_scratch, 0
	.set _ZN7rocprim17ROCPRIM_400000_NS6detail17trampoline_kernelINS0_14default_configENS1_22reduce_config_selectorImEEZNS1_11reduce_implILb1ES3_N6thrust23THRUST_200600_302600_NS11hip_rocprim35transform_pair_of_input_iterators_tImNS8_6detail15normal_iteratorINS8_10device_ptrIiEEEESF_NS8_12not_equal_toIiEEEEPmmNS8_4plusImEEEE10hipError_tPvRmT1_T2_T3_mT4_P12ihipStream_tbEUlT_E1_NS1_11comp_targetILNS1_3genE0ELNS1_11target_archE4294967295ELNS1_3gpuE0ELNS1_3repE0EEENS1_30default_config_static_selectorELNS0_4arch9wavefront6targetE0EEEvSP_.has_dyn_sized_stack, 0
	.set _ZN7rocprim17ROCPRIM_400000_NS6detail17trampoline_kernelINS0_14default_configENS1_22reduce_config_selectorImEEZNS1_11reduce_implILb1ES3_N6thrust23THRUST_200600_302600_NS11hip_rocprim35transform_pair_of_input_iterators_tImNS8_6detail15normal_iteratorINS8_10device_ptrIiEEEESF_NS8_12not_equal_toIiEEEEPmmNS8_4plusImEEEE10hipError_tPvRmT1_T2_T3_mT4_P12ihipStream_tbEUlT_E1_NS1_11comp_targetILNS1_3genE0ELNS1_11target_archE4294967295ELNS1_3gpuE0ELNS1_3repE0EEENS1_30default_config_static_selectorELNS0_4arch9wavefront6targetE0EEEvSP_.has_recursion, 0
	.set _ZN7rocprim17ROCPRIM_400000_NS6detail17trampoline_kernelINS0_14default_configENS1_22reduce_config_selectorImEEZNS1_11reduce_implILb1ES3_N6thrust23THRUST_200600_302600_NS11hip_rocprim35transform_pair_of_input_iterators_tImNS8_6detail15normal_iteratorINS8_10device_ptrIiEEEESF_NS8_12not_equal_toIiEEEEPmmNS8_4plusImEEEE10hipError_tPvRmT1_T2_T3_mT4_P12ihipStream_tbEUlT_E1_NS1_11comp_targetILNS1_3genE0ELNS1_11target_archE4294967295ELNS1_3gpuE0ELNS1_3repE0EEENS1_30default_config_static_selectorELNS0_4arch9wavefront6targetE0EEEvSP_.has_indirect_call, 0
	.section	.AMDGPU.csdata,"",@progbits
; Kernel info:
; codeLenInByte = 0
; TotalNumSgprs: 0
; NumVgprs: 0
; ScratchSize: 0
; MemoryBound: 0
; FloatMode: 240
; IeeeMode: 1
; LDSByteSize: 0 bytes/workgroup (compile time only)
; SGPRBlocks: 0
; VGPRBlocks: 0
; NumSGPRsForWavesPerEU: 1
; NumVGPRsForWavesPerEU: 1
; Occupancy: 16
; WaveLimiterHint : 0
; COMPUTE_PGM_RSRC2:SCRATCH_EN: 0
; COMPUTE_PGM_RSRC2:USER_SGPR: 6
; COMPUTE_PGM_RSRC2:TRAP_HANDLER: 0
; COMPUTE_PGM_RSRC2:TGID_X_EN: 1
; COMPUTE_PGM_RSRC2:TGID_Y_EN: 0
; COMPUTE_PGM_RSRC2:TGID_Z_EN: 0
; COMPUTE_PGM_RSRC2:TIDIG_COMP_CNT: 0
	.section	.text._ZN7rocprim17ROCPRIM_400000_NS6detail17trampoline_kernelINS0_14default_configENS1_22reduce_config_selectorImEEZNS1_11reduce_implILb1ES3_N6thrust23THRUST_200600_302600_NS11hip_rocprim35transform_pair_of_input_iterators_tImNS8_6detail15normal_iteratorINS8_10device_ptrIiEEEESF_NS8_12not_equal_toIiEEEEPmmNS8_4plusImEEEE10hipError_tPvRmT1_T2_T3_mT4_P12ihipStream_tbEUlT_E1_NS1_11comp_targetILNS1_3genE5ELNS1_11target_archE942ELNS1_3gpuE9ELNS1_3repE0EEENS1_30default_config_static_selectorELNS0_4arch9wavefront6targetE0EEEvSP_,"axG",@progbits,_ZN7rocprim17ROCPRIM_400000_NS6detail17trampoline_kernelINS0_14default_configENS1_22reduce_config_selectorImEEZNS1_11reduce_implILb1ES3_N6thrust23THRUST_200600_302600_NS11hip_rocprim35transform_pair_of_input_iterators_tImNS8_6detail15normal_iteratorINS8_10device_ptrIiEEEESF_NS8_12not_equal_toIiEEEEPmmNS8_4plusImEEEE10hipError_tPvRmT1_T2_T3_mT4_P12ihipStream_tbEUlT_E1_NS1_11comp_targetILNS1_3genE5ELNS1_11target_archE942ELNS1_3gpuE9ELNS1_3repE0EEENS1_30default_config_static_selectorELNS0_4arch9wavefront6targetE0EEEvSP_,comdat
	.protected	_ZN7rocprim17ROCPRIM_400000_NS6detail17trampoline_kernelINS0_14default_configENS1_22reduce_config_selectorImEEZNS1_11reduce_implILb1ES3_N6thrust23THRUST_200600_302600_NS11hip_rocprim35transform_pair_of_input_iterators_tImNS8_6detail15normal_iteratorINS8_10device_ptrIiEEEESF_NS8_12not_equal_toIiEEEEPmmNS8_4plusImEEEE10hipError_tPvRmT1_T2_T3_mT4_P12ihipStream_tbEUlT_E1_NS1_11comp_targetILNS1_3genE5ELNS1_11target_archE942ELNS1_3gpuE9ELNS1_3repE0EEENS1_30default_config_static_selectorELNS0_4arch9wavefront6targetE0EEEvSP_ ; -- Begin function _ZN7rocprim17ROCPRIM_400000_NS6detail17trampoline_kernelINS0_14default_configENS1_22reduce_config_selectorImEEZNS1_11reduce_implILb1ES3_N6thrust23THRUST_200600_302600_NS11hip_rocprim35transform_pair_of_input_iterators_tImNS8_6detail15normal_iteratorINS8_10device_ptrIiEEEESF_NS8_12not_equal_toIiEEEEPmmNS8_4plusImEEEE10hipError_tPvRmT1_T2_T3_mT4_P12ihipStream_tbEUlT_E1_NS1_11comp_targetILNS1_3genE5ELNS1_11target_archE942ELNS1_3gpuE9ELNS1_3repE0EEENS1_30default_config_static_selectorELNS0_4arch9wavefront6targetE0EEEvSP_
	.globl	_ZN7rocprim17ROCPRIM_400000_NS6detail17trampoline_kernelINS0_14default_configENS1_22reduce_config_selectorImEEZNS1_11reduce_implILb1ES3_N6thrust23THRUST_200600_302600_NS11hip_rocprim35transform_pair_of_input_iterators_tImNS8_6detail15normal_iteratorINS8_10device_ptrIiEEEESF_NS8_12not_equal_toIiEEEEPmmNS8_4plusImEEEE10hipError_tPvRmT1_T2_T3_mT4_P12ihipStream_tbEUlT_E1_NS1_11comp_targetILNS1_3genE5ELNS1_11target_archE942ELNS1_3gpuE9ELNS1_3repE0EEENS1_30default_config_static_selectorELNS0_4arch9wavefront6targetE0EEEvSP_
	.p2align	8
	.type	_ZN7rocprim17ROCPRIM_400000_NS6detail17trampoline_kernelINS0_14default_configENS1_22reduce_config_selectorImEEZNS1_11reduce_implILb1ES3_N6thrust23THRUST_200600_302600_NS11hip_rocprim35transform_pair_of_input_iterators_tImNS8_6detail15normal_iteratorINS8_10device_ptrIiEEEESF_NS8_12not_equal_toIiEEEEPmmNS8_4plusImEEEE10hipError_tPvRmT1_T2_T3_mT4_P12ihipStream_tbEUlT_E1_NS1_11comp_targetILNS1_3genE5ELNS1_11target_archE942ELNS1_3gpuE9ELNS1_3repE0EEENS1_30default_config_static_selectorELNS0_4arch9wavefront6targetE0EEEvSP_,@function
_ZN7rocprim17ROCPRIM_400000_NS6detail17trampoline_kernelINS0_14default_configENS1_22reduce_config_selectorImEEZNS1_11reduce_implILb1ES3_N6thrust23THRUST_200600_302600_NS11hip_rocprim35transform_pair_of_input_iterators_tImNS8_6detail15normal_iteratorINS8_10device_ptrIiEEEESF_NS8_12not_equal_toIiEEEEPmmNS8_4plusImEEEE10hipError_tPvRmT1_T2_T3_mT4_P12ihipStream_tbEUlT_E1_NS1_11comp_targetILNS1_3genE5ELNS1_11target_archE942ELNS1_3gpuE9ELNS1_3repE0EEENS1_30default_config_static_selectorELNS0_4arch9wavefront6targetE0EEEvSP_: ; @_ZN7rocprim17ROCPRIM_400000_NS6detail17trampoline_kernelINS0_14default_configENS1_22reduce_config_selectorImEEZNS1_11reduce_implILb1ES3_N6thrust23THRUST_200600_302600_NS11hip_rocprim35transform_pair_of_input_iterators_tImNS8_6detail15normal_iteratorINS8_10device_ptrIiEEEESF_NS8_12not_equal_toIiEEEEPmmNS8_4plusImEEEE10hipError_tPvRmT1_T2_T3_mT4_P12ihipStream_tbEUlT_E1_NS1_11comp_targetILNS1_3genE5ELNS1_11target_archE942ELNS1_3gpuE9ELNS1_3repE0EEENS1_30default_config_static_selectorELNS0_4arch9wavefront6targetE0EEEvSP_
; %bb.0:
	.section	.rodata,"a",@progbits
	.p2align	6, 0x0
	.amdhsa_kernel _ZN7rocprim17ROCPRIM_400000_NS6detail17trampoline_kernelINS0_14default_configENS1_22reduce_config_selectorImEEZNS1_11reduce_implILb1ES3_N6thrust23THRUST_200600_302600_NS11hip_rocprim35transform_pair_of_input_iterators_tImNS8_6detail15normal_iteratorINS8_10device_ptrIiEEEESF_NS8_12not_equal_toIiEEEEPmmNS8_4plusImEEEE10hipError_tPvRmT1_T2_T3_mT4_P12ihipStream_tbEUlT_E1_NS1_11comp_targetILNS1_3genE5ELNS1_11target_archE942ELNS1_3gpuE9ELNS1_3repE0EEENS1_30default_config_static_selectorELNS0_4arch9wavefront6targetE0EEEvSP_
		.amdhsa_group_segment_fixed_size 0
		.amdhsa_private_segment_fixed_size 0
		.amdhsa_kernarg_size 64
		.amdhsa_user_sgpr_count 6
		.amdhsa_user_sgpr_private_segment_buffer 1
		.amdhsa_user_sgpr_dispatch_ptr 0
		.amdhsa_user_sgpr_queue_ptr 0
		.amdhsa_user_sgpr_kernarg_segment_ptr 1
		.amdhsa_user_sgpr_dispatch_id 0
		.amdhsa_user_sgpr_flat_scratch_init 0
		.amdhsa_user_sgpr_private_segment_size 0
		.amdhsa_wavefront_size32 1
		.amdhsa_uses_dynamic_stack 0
		.amdhsa_system_sgpr_private_segment_wavefront_offset 0
		.amdhsa_system_sgpr_workgroup_id_x 1
		.amdhsa_system_sgpr_workgroup_id_y 0
		.amdhsa_system_sgpr_workgroup_id_z 0
		.amdhsa_system_sgpr_workgroup_info 0
		.amdhsa_system_vgpr_workitem_id 0
		.amdhsa_next_free_vgpr 1
		.amdhsa_next_free_sgpr 1
		.amdhsa_reserve_vcc 0
		.amdhsa_reserve_flat_scratch 0
		.amdhsa_float_round_mode_32 0
		.amdhsa_float_round_mode_16_64 0
		.amdhsa_float_denorm_mode_32 3
		.amdhsa_float_denorm_mode_16_64 3
		.amdhsa_dx10_clamp 1
		.amdhsa_ieee_mode 1
		.amdhsa_fp16_overflow 0
		.amdhsa_workgroup_processor_mode 1
		.amdhsa_memory_ordered 1
		.amdhsa_forward_progress 1
		.amdhsa_shared_vgpr_count 0
		.amdhsa_exception_fp_ieee_invalid_op 0
		.amdhsa_exception_fp_denorm_src 0
		.amdhsa_exception_fp_ieee_div_zero 0
		.amdhsa_exception_fp_ieee_overflow 0
		.amdhsa_exception_fp_ieee_underflow 0
		.amdhsa_exception_fp_ieee_inexact 0
		.amdhsa_exception_int_div_zero 0
	.end_amdhsa_kernel
	.section	.text._ZN7rocprim17ROCPRIM_400000_NS6detail17trampoline_kernelINS0_14default_configENS1_22reduce_config_selectorImEEZNS1_11reduce_implILb1ES3_N6thrust23THRUST_200600_302600_NS11hip_rocprim35transform_pair_of_input_iterators_tImNS8_6detail15normal_iteratorINS8_10device_ptrIiEEEESF_NS8_12not_equal_toIiEEEEPmmNS8_4plusImEEEE10hipError_tPvRmT1_T2_T3_mT4_P12ihipStream_tbEUlT_E1_NS1_11comp_targetILNS1_3genE5ELNS1_11target_archE942ELNS1_3gpuE9ELNS1_3repE0EEENS1_30default_config_static_selectorELNS0_4arch9wavefront6targetE0EEEvSP_,"axG",@progbits,_ZN7rocprim17ROCPRIM_400000_NS6detail17trampoline_kernelINS0_14default_configENS1_22reduce_config_selectorImEEZNS1_11reduce_implILb1ES3_N6thrust23THRUST_200600_302600_NS11hip_rocprim35transform_pair_of_input_iterators_tImNS8_6detail15normal_iteratorINS8_10device_ptrIiEEEESF_NS8_12not_equal_toIiEEEEPmmNS8_4plusImEEEE10hipError_tPvRmT1_T2_T3_mT4_P12ihipStream_tbEUlT_E1_NS1_11comp_targetILNS1_3genE5ELNS1_11target_archE942ELNS1_3gpuE9ELNS1_3repE0EEENS1_30default_config_static_selectorELNS0_4arch9wavefront6targetE0EEEvSP_,comdat
.Lfunc_end48:
	.size	_ZN7rocprim17ROCPRIM_400000_NS6detail17trampoline_kernelINS0_14default_configENS1_22reduce_config_selectorImEEZNS1_11reduce_implILb1ES3_N6thrust23THRUST_200600_302600_NS11hip_rocprim35transform_pair_of_input_iterators_tImNS8_6detail15normal_iteratorINS8_10device_ptrIiEEEESF_NS8_12not_equal_toIiEEEEPmmNS8_4plusImEEEE10hipError_tPvRmT1_T2_T3_mT4_P12ihipStream_tbEUlT_E1_NS1_11comp_targetILNS1_3genE5ELNS1_11target_archE942ELNS1_3gpuE9ELNS1_3repE0EEENS1_30default_config_static_selectorELNS0_4arch9wavefront6targetE0EEEvSP_, .Lfunc_end48-_ZN7rocprim17ROCPRIM_400000_NS6detail17trampoline_kernelINS0_14default_configENS1_22reduce_config_selectorImEEZNS1_11reduce_implILb1ES3_N6thrust23THRUST_200600_302600_NS11hip_rocprim35transform_pair_of_input_iterators_tImNS8_6detail15normal_iteratorINS8_10device_ptrIiEEEESF_NS8_12not_equal_toIiEEEEPmmNS8_4plusImEEEE10hipError_tPvRmT1_T2_T3_mT4_P12ihipStream_tbEUlT_E1_NS1_11comp_targetILNS1_3genE5ELNS1_11target_archE942ELNS1_3gpuE9ELNS1_3repE0EEENS1_30default_config_static_selectorELNS0_4arch9wavefront6targetE0EEEvSP_
                                        ; -- End function
	.set _ZN7rocprim17ROCPRIM_400000_NS6detail17trampoline_kernelINS0_14default_configENS1_22reduce_config_selectorImEEZNS1_11reduce_implILb1ES3_N6thrust23THRUST_200600_302600_NS11hip_rocprim35transform_pair_of_input_iterators_tImNS8_6detail15normal_iteratorINS8_10device_ptrIiEEEESF_NS8_12not_equal_toIiEEEEPmmNS8_4plusImEEEE10hipError_tPvRmT1_T2_T3_mT4_P12ihipStream_tbEUlT_E1_NS1_11comp_targetILNS1_3genE5ELNS1_11target_archE942ELNS1_3gpuE9ELNS1_3repE0EEENS1_30default_config_static_selectorELNS0_4arch9wavefront6targetE0EEEvSP_.num_vgpr, 0
	.set _ZN7rocprim17ROCPRIM_400000_NS6detail17trampoline_kernelINS0_14default_configENS1_22reduce_config_selectorImEEZNS1_11reduce_implILb1ES3_N6thrust23THRUST_200600_302600_NS11hip_rocprim35transform_pair_of_input_iterators_tImNS8_6detail15normal_iteratorINS8_10device_ptrIiEEEESF_NS8_12not_equal_toIiEEEEPmmNS8_4plusImEEEE10hipError_tPvRmT1_T2_T3_mT4_P12ihipStream_tbEUlT_E1_NS1_11comp_targetILNS1_3genE5ELNS1_11target_archE942ELNS1_3gpuE9ELNS1_3repE0EEENS1_30default_config_static_selectorELNS0_4arch9wavefront6targetE0EEEvSP_.num_agpr, 0
	.set _ZN7rocprim17ROCPRIM_400000_NS6detail17trampoline_kernelINS0_14default_configENS1_22reduce_config_selectorImEEZNS1_11reduce_implILb1ES3_N6thrust23THRUST_200600_302600_NS11hip_rocprim35transform_pair_of_input_iterators_tImNS8_6detail15normal_iteratorINS8_10device_ptrIiEEEESF_NS8_12not_equal_toIiEEEEPmmNS8_4plusImEEEE10hipError_tPvRmT1_T2_T3_mT4_P12ihipStream_tbEUlT_E1_NS1_11comp_targetILNS1_3genE5ELNS1_11target_archE942ELNS1_3gpuE9ELNS1_3repE0EEENS1_30default_config_static_selectorELNS0_4arch9wavefront6targetE0EEEvSP_.numbered_sgpr, 0
	.set _ZN7rocprim17ROCPRIM_400000_NS6detail17trampoline_kernelINS0_14default_configENS1_22reduce_config_selectorImEEZNS1_11reduce_implILb1ES3_N6thrust23THRUST_200600_302600_NS11hip_rocprim35transform_pair_of_input_iterators_tImNS8_6detail15normal_iteratorINS8_10device_ptrIiEEEESF_NS8_12not_equal_toIiEEEEPmmNS8_4plusImEEEE10hipError_tPvRmT1_T2_T3_mT4_P12ihipStream_tbEUlT_E1_NS1_11comp_targetILNS1_3genE5ELNS1_11target_archE942ELNS1_3gpuE9ELNS1_3repE0EEENS1_30default_config_static_selectorELNS0_4arch9wavefront6targetE0EEEvSP_.num_named_barrier, 0
	.set _ZN7rocprim17ROCPRIM_400000_NS6detail17trampoline_kernelINS0_14default_configENS1_22reduce_config_selectorImEEZNS1_11reduce_implILb1ES3_N6thrust23THRUST_200600_302600_NS11hip_rocprim35transform_pair_of_input_iterators_tImNS8_6detail15normal_iteratorINS8_10device_ptrIiEEEESF_NS8_12not_equal_toIiEEEEPmmNS8_4plusImEEEE10hipError_tPvRmT1_T2_T3_mT4_P12ihipStream_tbEUlT_E1_NS1_11comp_targetILNS1_3genE5ELNS1_11target_archE942ELNS1_3gpuE9ELNS1_3repE0EEENS1_30default_config_static_selectorELNS0_4arch9wavefront6targetE0EEEvSP_.private_seg_size, 0
	.set _ZN7rocprim17ROCPRIM_400000_NS6detail17trampoline_kernelINS0_14default_configENS1_22reduce_config_selectorImEEZNS1_11reduce_implILb1ES3_N6thrust23THRUST_200600_302600_NS11hip_rocprim35transform_pair_of_input_iterators_tImNS8_6detail15normal_iteratorINS8_10device_ptrIiEEEESF_NS8_12not_equal_toIiEEEEPmmNS8_4plusImEEEE10hipError_tPvRmT1_T2_T3_mT4_P12ihipStream_tbEUlT_E1_NS1_11comp_targetILNS1_3genE5ELNS1_11target_archE942ELNS1_3gpuE9ELNS1_3repE0EEENS1_30default_config_static_selectorELNS0_4arch9wavefront6targetE0EEEvSP_.uses_vcc, 0
	.set _ZN7rocprim17ROCPRIM_400000_NS6detail17trampoline_kernelINS0_14default_configENS1_22reduce_config_selectorImEEZNS1_11reduce_implILb1ES3_N6thrust23THRUST_200600_302600_NS11hip_rocprim35transform_pair_of_input_iterators_tImNS8_6detail15normal_iteratorINS8_10device_ptrIiEEEESF_NS8_12not_equal_toIiEEEEPmmNS8_4plusImEEEE10hipError_tPvRmT1_T2_T3_mT4_P12ihipStream_tbEUlT_E1_NS1_11comp_targetILNS1_3genE5ELNS1_11target_archE942ELNS1_3gpuE9ELNS1_3repE0EEENS1_30default_config_static_selectorELNS0_4arch9wavefront6targetE0EEEvSP_.uses_flat_scratch, 0
	.set _ZN7rocprim17ROCPRIM_400000_NS6detail17trampoline_kernelINS0_14default_configENS1_22reduce_config_selectorImEEZNS1_11reduce_implILb1ES3_N6thrust23THRUST_200600_302600_NS11hip_rocprim35transform_pair_of_input_iterators_tImNS8_6detail15normal_iteratorINS8_10device_ptrIiEEEESF_NS8_12not_equal_toIiEEEEPmmNS8_4plusImEEEE10hipError_tPvRmT1_T2_T3_mT4_P12ihipStream_tbEUlT_E1_NS1_11comp_targetILNS1_3genE5ELNS1_11target_archE942ELNS1_3gpuE9ELNS1_3repE0EEENS1_30default_config_static_selectorELNS0_4arch9wavefront6targetE0EEEvSP_.has_dyn_sized_stack, 0
	.set _ZN7rocprim17ROCPRIM_400000_NS6detail17trampoline_kernelINS0_14default_configENS1_22reduce_config_selectorImEEZNS1_11reduce_implILb1ES3_N6thrust23THRUST_200600_302600_NS11hip_rocprim35transform_pair_of_input_iterators_tImNS8_6detail15normal_iteratorINS8_10device_ptrIiEEEESF_NS8_12not_equal_toIiEEEEPmmNS8_4plusImEEEE10hipError_tPvRmT1_T2_T3_mT4_P12ihipStream_tbEUlT_E1_NS1_11comp_targetILNS1_3genE5ELNS1_11target_archE942ELNS1_3gpuE9ELNS1_3repE0EEENS1_30default_config_static_selectorELNS0_4arch9wavefront6targetE0EEEvSP_.has_recursion, 0
	.set _ZN7rocprim17ROCPRIM_400000_NS6detail17trampoline_kernelINS0_14default_configENS1_22reduce_config_selectorImEEZNS1_11reduce_implILb1ES3_N6thrust23THRUST_200600_302600_NS11hip_rocprim35transform_pair_of_input_iterators_tImNS8_6detail15normal_iteratorINS8_10device_ptrIiEEEESF_NS8_12not_equal_toIiEEEEPmmNS8_4plusImEEEE10hipError_tPvRmT1_T2_T3_mT4_P12ihipStream_tbEUlT_E1_NS1_11comp_targetILNS1_3genE5ELNS1_11target_archE942ELNS1_3gpuE9ELNS1_3repE0EEENS1_30default_config_static_selectorELNS0_4arch9wavefront6targetE0EEEvSP_.has_indirect_call, 0
	.section	.AMDGPU.csdata,"",@progbits
; Kernel info:
; codeLenInByte = 0
; TotalNumSgprs: 0
; NumVgprs: 0
; ScratchSize: 0
; MemoryBound: 0
; FloatMode: 240
; IeeeMode: 1
; LDSByteSize: 0 bytes/workgroup (compile time only)
; SGPRBlocks: 0
; VGPRBlocks: 0
; NumSGPRsForWavesPerEU: 1
; NumVGPRsForWavesPerEU: 1
; Occupancy: 16
; WaveLimiterHint : 0
; COMPUTE_PGM_RSRC2:SCRATCH_EN: 0
; COMPUTE_PGM_RSRC2:USER_SGPR: 6
; COMPUTE_PGM_RSRC2:TRAP_HANDLER: 0
; COMPUTE_PGM_RSRC2:TGID_X_EN: 1
; COMPUTE_PGM_RSRC2:TGID_Y_EN: 0
; COMPUTE_PGM_RSRC2:TGID_Z_EN: 0
; COMPUTE_PGM_RSRC2:TIDIG_COMP_CNT: 0
	.section	.text._ZN7rocprim17ROCPRIM_400000_NS6detail17trampoline_kernelINS0_14default_configENS1_22reduce_config_selectorImEEZNS1_11reduce_implILb1ES3_N6thrust23THRUST_200600_302600_NS11hip_rocprim35transform_pair_of_input_iterators_tImNS8_6detail15normal_iteratorINS8_10device_ptrIiEEEESF_NS8_12not_equal_toIiEEEEPmmNS8_4plusImEEEE10hipError_tPvRmT1_T2_T3_mT4_P12ihipStream_tbEUlT_E1_NS1_11comp_targetILNS1_3genE4ELNS1_11target_archE910ELNS1_3gpuE8ELNS1_3repE0EEENS1_30default_config_static_selectorELNS0_4arch9wavefront6targetE0EEEvSP_,"axG",@progbits,_ZN7rocprim17ROCPRIM_400000_NS6detail17trampoline_kernelINS0_14default_configENS1_22reduce_config_selectorImEEZNS1_11reduce_implILb1ES3_N6thrust23THRUST_200600_302600_NS11hip_rocprim35transform_pair_of_input_iterators_tImNS8_6detail15normal_iteratorINS8_10device_ptrIiEEEESF_NS8_12not_equal_toIiEEEEPmmNS8_4plusImEEEE10hipError_tPvRmT1_T2_T3_mT4_P12ihipStream_tbEUlT_E1_NS1_11comp_targetILNS1_3genE4ELNS1_11target_archE910ELNS1_3gpuE8ELNS1_3repE0EEENS1_30default_config_static_selectorELNS0_4arch9wavefront6targetE0EEEvSP_,comdat
	.protected	_ZN7rocprim17ROCPRIM_400000_NS6detail17trampoline_kernelINS0_14default_configENS1_22reduce_config_selectorImEEZNS1_11reduce_implILb1ES3_N6thrust23THRUST_200600_302600_NS11hip_rocprim35transform_pair_of_input_iterators_tImNS8_6detail15normal_iteratorINS8_10device_ptrIiEEEESF_NS8_12not_equal_toIiEEEEPmmNS8_4plusImEEEE10hipError_tPvRmT1_T2_T3_mT4_P12ihipStream_tbEUlT_E1_NS1_11comp_targetILNS1_3genE4ELNS1_11target_archE910ELNS1_3gpuE8ELNS1_3repE0EEENS1_30default_config_static_selectorELNS0_4arch9wavefront6targetE0EEEvSP_ ; -- Begin function _ZN7rocprim17ROCPRIM_400000_NS6detail17trampoline_kernelINS0_14default_configENS1_22reduce_config_selectorImEEZNS1_11reduce_implILb1ES3_N6thrust23THRUST_200600_302600_NS11hip_rocprim35transform_pair_of_input_iterators_tImNS8_6detail15normal_iteratorINS8_10device_ptrIiEEEESF_NS8_12not_equal_toIiEEEEPmmNS8_4plusImEEEE10hipError_tPvRmT1_T2_T3_mT4_P12ihipStream_tbEUlT_E1_NS1_11comp_targetILNS1_3genE4ELNS1_11target_archE910ELNS1_3gpuE8ELNS1_3repE0EEENS1_30default_config_static_selectorELNS0_4arch9wavefront6targetE0EEEvSP_
	.globl	_ZN7rocprim17ROCPRIM_400000_NS6detail17trampoline_kernelINS0_14default_configENS1_22reduce_config_selectorImEEZNS1_11reduce_implILb1ES3_N6thrust23THRUST_200600_302600_NS11hip_rocprim35transform_pair_of_input_iterators_tImNS8_6detail15normal_iteratorINS8_10device_ptrIiEEEESF_NS8_12not_equal_toIiEEEEPmmNS8_4plusImEEEE10hipError_tPvRmT1_T2_T3_mT4_P12ihipStream_tbEUlT_E1_NS1_11comp_targetILNS1_3genE4ELNS1_11target_archE910ELNS1_3gpuE8ELNS1_3repE0EEENS1_30default_config_static_selectorELNS0_4arch9wavefront6targetE0EEEvSP_
	.p2align	8
	.type	_ZN7rocprim17ROCPRIM_400000_NS6detail17trampoline_kernelINS0_14default_configENS1_22reduce_config_selectorImEEZNS1_11reduce_implILb1ES3_N6thrust23THRUST_200600_302600_NS11hip_rocprim35transform_pair_of_input_iterators_tImNS8_6detail15normal_iteratorINS8_10device_ptrIiEEEESF_NS8_12not_equal_toIiEEEEPmmNS8_4plusImEEEE10hipError_tPvRmT1_T2_T3_mT4_P12ihipStream_tbEUlT_E1_NS1_11comp_targetILNS1_3genE4ELNS1_11target_archE910ELNS1_3gpuE8ELNS1_3repE0EEENS1_30default_config_static_selectorELNS0_4arch9wavefront6targetE0EEEvSP_,@function
_ZN7rocprim17ROCPRIM_400000_NS6detail17trampoline_kernelINS0_14default_configENS1_22reduce_config_selectorImEEZNS1_11reduce_implILb1ES3_N6thrust23THRUST_200600_302600_NS11hip_rocprim35transform_pair_of_input_iterators_tImNS8_6detail15normal_iteratorINS8_10device_ptrIiEEEESF_NS8_12not_equal_toIiEEEEPmmNS8_4plusImEEEE10hipError_tPvRmT1_T2_T3_mT4_P12ihipStream_tbEUlT_E1_NS1_11comp_targetILNS1_3genE4ELNS1_11target_archE910ELNS1_3gpuE8ELNS1_3repE0EEENS1_30default_config_static_selectorELNS0_4arch9wavefront6targetE0EEEvSP_: ; @_ZN7rocprim17ROCPRIM_400000_NS6detail17trampoline_kernelINS0_14default_configENS1_22reduce_config_selectorImEEZNS1_11reduce_implILb1ES3_N6thrust23THRUST_200600_302600_NS11hip_rocprim35transform_pair_of_input_iterators_tImNS8_6detail15normal_iteratorINS8_10device_ptrIiEEEESF_NS8_12not_equal_toIiEEEEPmmNS8_4plusImEEEE10hipError_tPvRmT1_T2_T3_mT4_P12ihipStream_tbEUlT_E1_NS1_11comp_targetILNS1_3genE4ELNS1_11target_archE910ELNS1_3gpuE8ELNS1_3repE0EEENS1_30default_config_static_selectorELNS0_4arch9wavefront6targetE0EEEvSP_
; %bb.0:
	.section	.rodata,"a",@progbits
	.p2align	6, 0x0
	.amdhsa_kernel _ZN7rocprim17ROCPRIM_400000_NS6detail17trampoline_kernelINS0_14default_configENS1_22reduce_config_selectorImEEZNS1_11reduce_implILb1ES3_N6thrust23THRUST_200600_302600_NS11hip_rocprim35transform_pair_of_input_iterators_tImNS8_6detail15normal_iteratorINS8_10device_ptrIiEEEESF_NS8_12not_equal_toIiEEEEPmmNS8_4plusImEEEE10hipError_tPvRmT1_T2_T3_mT4_P12ihipStream_tbEUlT_E1_NS1_11comp_targetILNS1_3genE4ELNS1_11target_archE910ELNS1_3gpuE8ELNS1_3repE0EEENS1_30default_config_static_selectorELNS0_4arch9wavefront6targetE0EEEvSP_
		.amdhsa_group_segment_fixed_size 0
		.amdhsa_private_segment_fixed_size 0
		.amdhsa_kernarg_size 64
		.amdhsa_user_sgpr_count 6
		.amdhsa_user_sgpr_private_segment_buffer 1
		.amdhsa_user_sgpr_dispatch_ptr 0
		.amdhsa_user_sgpr_queue_ptr 0
		.amdhsa_user_sgpr_kernarg_segment_ptr 1
		.amdhsa_user_sgpr_dispatch_id 0
		.amdhsa_user_sgpr_flat_scratch_init 0
		.amdhsa_user_sgpr_private_segment_size 0
		.amdhsa_wavefront_size32 1
		.amdhsa_uses_dynamic_stack 0
		.amdhsa_system_sgpr_private_segment_wavefront_offset 0
		.amdhsa_system_sgpr_workgroup_id_x 1
		.amdhsa_system_sgpr_workgroup_id_y 0
		.amdhsa_system_sgpr_workgroup_id_z 0
		.amdhsa_system_sgpr_workgroup_info 0
		.amdhsa_system_vgpr_workitem_id 0
		.amdhsa_next_free_vgpr 1
		.amdhsa_next_free_sgpr 1
		.amdhsa_reserve_vcc 0
		.amdhsa_reserve_flat_scratch 0
		.amdhsa_float_round_mode_32 0
		.amdhsa_float_round_mode_16_64 0
		.amdhsa_float_denorm_mode_32 3
		.amdhsa_float_denorm_mode_16_64 3
		.amdhsa_dx10_clamp 1
		.amdhsa_ieee_mode 1
		.amdhsa_fp16_overflow 0
		.amdhsa_workgroup_processor_mode 1
		.amdhsa_memory_ordered 1
		.amdhsa_forward_progress 1
		.amdhsa_shared_vgpr_count 0
		.amdhsa_exception_fp_ieee_invalid_op 0
		.amdhsa_exception_fp_denorm_src 0
		.amdhsa_exception_fp_ieee_div_zero 0
		.amdhsa_exception_fp_ieee_overflow 0
		.amdhsa_exception_fp_ieee_underflow 0
		.amdhsa_exception_fp_ieee_inexact 0
		.amdhsa_exception_int_div_zero 0
	.end_amdhsa_kernel
	.section	.text._ZN7rocprim17ROCPRIM_400000_NS6detail17trampoline_kernelINS0_14default_configENS1_22reduce_config_selectorImEEZNS1_11reduce_implILb1ES3_N6thrust23THRUST_200600_302600_NS11hip_rocprim35transform_pair_of_input_iterators_tImNS8_6detail15normal_iteratorINS8_10device_ptrIiEEEESF_NS8_12not_equal_toIiEEEEPmmNS8_4plusImEEEE10hipError_tPvRmT1_T2_T3_mT4_P12ihipStream_tbEUlT_E1_NS1_11comp_targetILNS1_3genE4ELNS1_11target_archE910ELNS1_3gpuE8ELNS1_3repE0EEENS1_30default_config_static_selectorELNS0_4arch9wavefront6targetE0EEEvSP_,"axG",@progbits,_ZN7rocprim17ROCPRIM_400000_NS6detail17trampoline_kernelINS0_14default_configENS1_22reduce_config_selectorImEEZNS1_11reduce_implILb1ES3_N6thrust23THRUST_200600_302600_NS11hip_rocprim35transform_pair_of_input_iterators_tImNS8_6detail15normal_iteratorINS8_10device_ptrIiEEEESF_NS8_12not_equal_toIiEEEEPmmNS8_4plusImEEEE10hipError_tPvRmT1_T2_T3_mT4_P12ihipStream_tbEUlT_E1_NS1_11comp_targetILNS1_3genE4ELNS1_11target_archE910ELNS1_3gpuE8ELNS1_3repE0EEENS1_30default_config_static_selectorELNS0_4arch9wavefront6targetE0EEEvSP_,comdat
.Lfunc_end49:
	.size	_ZN7rocprim17ROCPRIM_400000_NS6detail17trampoline_kernelINS0_14default_configENS1_22reduce_config_selectorImEEZNS1_11reduce_implILb1ES3_N6thrust23THRUST_200600_302600_NS11hip_rocprim35transform_pair_of_input_iterators_tImNS8_6detail15normal_iteratorINS8_10device_ptrIiEEEESF_NS8_12not_equal_toIiEEEEPmmNS8_4plusImEEEE10hipError_tPvRmT1_T2_T3_mT4_P12ihipStream_tbEUlT_E1_NS1_11comp_targetILNS1_3genE4ELNS1_11target_archE910ELNS1_3gpuE8ELNS1_3repE0EEENS1_30default_config_static_selectorELNS0_4arch9wavefront6targetE0EEEvSP_, .Lfunc_end49-_ZN7rocprim17ROCPRIM_400000_NS6detail17trampoline_kernelINS0_14default_configENS1_22reduce_config_selectorImEEZNS1_11reduce_implILb1ES3_N6thrust23THRUST_200600_302600_NS11hip_rocprim35transform_pair_of_input_iterators_tImNS8_6detail15normal_iteratorINS8_10device_ptrIiEEEESF_NS8_12not_equal_toIiEEEEPmmNS8_4plusImEEEE10hipError_tPvRmT1_T2_T3_mT4_P12ihipStream_tbEUlT_E1_NS1_11comp_targetILNS1_3genE4ELNS1_11target_archE910ELNS1_3gpuE8ELNS1_3repE0EEENS1_30default_config_static_selectorELNS0_4arch9wavefront6targetE0EEEvSP_
                                        ; -- End function
	.set _ZN7rocprim17ROCPRIM_400000_NS6detail17trampoline_kernelINS0_14default_configENS1_22reduce_config_selectorImEEZNS1_11reduce_implILb1ES3_N6thrust23THRUST_200600_302600_NS11hip_rocprim35transform_pair_of_input_iterators_tImNS8_6detail15normal_iteratorINS8_10device_ptrIiEEEESF_NS8_12not_equal_toIiEEEEPmmNS8_4plusImEEEE10hipError_tPvRmT1_T2_T3_mT4_P12ihipStream_tbEUlT_E1_NS1_11comp_targetILNS1_3genE4ELNS1_11target_archE910ELNS1_3gpuE8ELNS1_3repE0EEENS1_30default_config_static_selectorELNS0_4arch9wavefront6targetE0EEEvSP_.num_vgpr, 0
	.set _ZN7rocprim17ROCPRIM_400000_NS6detail17trampoline_kernelINS0_14default_configENS1_22reduce_config_selectorImEEZNS1_11reduce_implILb1ES3_N6thrust23THRUST_200600_302600_NS11hip_rocprim35transform_pair_of_input_iterators_tImNS8_6detail15normal_iteratorINS8_10device_ptrIiEEEESF_NS8_12not_equal_toIiEEEEPmmNS8_4plusImEEEE10hipError_tPvRmT1_T2_T3_mT4_P12ihipStream_tbEUlT_E1_NS1_11comp_targetILNS1_3genE4ELNS1_11target_archE910ELNS1_3gpuE8ELNS1_3repE0EEENS1_30default_config_static_selectorELNS0_4arch9wavefront6targetE0EEEvSP_.num_agpr, 0
	.set _ZN7rocprim17ROCPRIM_400000_NS6detail17trampoline_kernelINS0_14default_configENS1_22reduce_config_selectorImEEZNS1_11reduce_implILb1ES3_N6thrust23THRUST_200600_302600_NS11hip_rocprim35transform_pair_of_input_iterators_tImNS8_6detail15normal_iteratorINS8_10device_ptrIiEEEESF_NS8_12not_equal_toIiEEEEPmmNS8_4plusImEEEE10hipError_tPvRmT1_T2_T3_mT4_P12ihipStream_tbEUlT_E1_NS1_11comp_targetILNS1_3genE4ELNS1_11target_archE910ELNS1_3gpuE8ELNS1_3repE0EEENS1_30default_config_static_selectorELNS0_4arch9wavefront6targetE0EEEvSP_.numbered_sgpr, 0
	.set _ZN7rocprim17ROCPRIM_400000_NS6detail17trampoline_kernelINS0_14default_configENS1_22reduce_config_selectorImEEZNS1_11reduce_implILb1ES3_N6thrust23THRUST_200600_302600_NS11hip_rocprim35transform_pair_of_input_iterators_tImNS8_6detail15normal_iteratorINS8_10device_ptrIiEEEESF_NS8_12not_equal_toIiEEEEPmmNS8_4plusImEEEE10hipError_tPvRmT1_T2_T3_mT4_P12ihipStream_tbEUlT_E1_NS1_11comp_targetILNS1_3genE4ELNS1_11target_archE910ELNS1_3gpuE8ELNS1_3repE0EEENS1_30default_config_static_selectorELNS0_4arch9wavefront6targetE0EEEvSP_.num_named_barrier, 0
	.set _ZN7rocprim17ROCPRIM_400000_NS6detail17trampoline_kernelINS0_14default_configENS1_22reduce_config_selectorImEEZNS1_11reduce_implILb1ES3_N6thrust23THRUST_200600_302600_NS11hip_rocprim35transform_pair_of_input_iterators_tImNS8_6detail15normal_iteratorINS8_10device_ptrIiEEEESF_NS8_12not_equal_toIiEEEEPmmNS8_4plusImEEEE10hipError_tPvRmT1_T2_T3_mT4_P12ihipStream_tbEUlT_E1_NS1_11comp_targetILNS1_3genE4ELNS1_11target_archE910ELNS1_3gpuE8ELNS1_3repE0EEENS1_30default_config_static_selectorELNS0_4arch9wavefront6targetE0EEEvSP_.private_seg_size, 0
	.set _ZN7rocprim17ROCPRIM_400000_NS6detail17trampoline_kernelINS0_14default_configENS1_22reduce_config_selectorImEEZNS1_11reduce_implILb1ES3_N6thrust23THRUST_200600_302600_NS11hip_rocprim35transform_pair_of_input_iterators_tImNS8_6detail15normal_iteratorINS8_10device_ptrIiEEEESF_NS8_12not_equal_toIiEEEEPmmNS8_4plusImEEEE10hipError_tPvRmT1_T2_T3_mT4_P12ihipStream_tbEUlT_E1_NS1_11comp_targetILNS1_3genE4ELNS1_11target_archE910ELNS1_3gpuE8ELNS1_3repE0EEENS1_30default_config_static_selectorELNS0_4arch9wavefront6targetE0EEEvSP_.uses_vcc, 0
	.set _ZN7rocprim17ROCPRIM_400000_NS6detail17trampoline_kernelINS0_14default_configENS1_22reduce_config_selectorImEEZNS1_11reduce_implILb1ES3_N6thrust23THRUST_200600_302600_NS11hip_rocprim35transform_pair_of_input_iterators_tImNS8_6detail15normal_iteratorINS8_10device_ptrIiEEEESF_NS8_12not_equal_toIiEEEEPmmNS8_4plusImEEEE10hipError_tPvRmT1_T2_T3_mT4_P12ihipStream_tbEUlT_E1_NS1_11comp_targetILNS1_3genE4ELNS1_11target_archE910ELNS1_3gpuE8ELNS1_3repE0EEENS1_30default_config_static_selectorELNS0_4arch9wavefront6targetE0EEEvSP_.uses_flat_scratch, 0
	.set _ZN7rocprim17ROCPRIM_400000_NS6detail17trampoline_kernelINS0_14default_configENS1_22reduce_config_selectorImEEZNS1_11reduce_implILb1ES3_N6thrust23THRUST_200600_302600_NS11hip_rocprim35transform_pair_of_input_iterators_tImNS8_6detail15normal_iteratorINS8_10device_ptrIiEEEESF_NS8_12not_equal_toIiEEEEPmmNS8_4plusImEEEE10hipError_tPvRmT1_T2_T3_mT4_P12ihipStream_tbEUlT_E1_NS1_11comp_targetILNS1_3genE4ELNS1_11target_archE910ELNS1_3gpuE8ELNS1_3repE0EEENS1_30default_config_static_selectorELNS0_4arch9wavefront6targetE0EEEvSP_.has_dyn_sized_stack, 0
	.set _ZN7rocprim17ROCPRIM_400000_NS6detail17trampoline_kernelINS0_14default_configENS1_22reduce_config_selectorImEEZNS1_11reduce_implILb1ES3_N6thrust23THRUST_200600_302600_NS11hip_rocprim35transform_pair_of_input_iterators_tImNS8_6detail15normal_iteratorINS8_10device_ptrIiEEEESF_NS8_12not_equal_toIiEEEEPmmNS8_4plusImEEEE10hipError_tPvRmT1_T2_T3_mT4_P12ihipStream_tbEUlT_E1_NS1_11comp_targetILNS1_3genE4ELNS1_11target_archE910ELNS1_3gpuE8ELNS1_3repE0EEENS1_30default_config_static_selectorELNS0_4arch9wavefront6targetE0EEEvSP_.has_recursion, 0
	.set _ZN7rocprim17ROCPRIM_400000_NS6detail17trampoline_kernelINS0_14default_configENS1_22reduce_config_selectorImEEZNS1_11reduce_implILb1ES3_N6thrust23THRUST_200600_302600_NS11hip_rocprim35transform_pair_of_input_iterators_tImNS8_6detail15normal_iteratorINS8_10device_ptrIiEEEESF_NS8_12not_equal_toIiEEEEPmmNS8_4plusImEEEE10hipError_tPvRmT1_T2_T3_mT4_P12ihipStream_tbEUlT_E1_NS1_11comp_targetILNS1_3genE4ELNS1_11target_archE910ELNS1_3gpuE8ELNS1_3repE0EEENS1_30default_config_static_selectorELNS0_4arch9wavefront6targetE0EEEvSP_.has_indirect_call, 0
	.section	.AMDGPU.csdata,"",@progbits
; Kernel info:
; codeLenInByte = 0
; TotalNumSgprs: 0
; NumVgprs: 0
; ScratchSize: 0
; MemoryBound: 0
; FloatMode: 240
; IeeeMode: 1
; LDSByteSize: 0 bytes/workgroup (compile time only)
; SGPRBlocks: 0
; VGPRBlocks: 0
; NumSGPRsForWavesPerEU: 1
; NumVGPRsForWavesPerEU: 1
; Occupancy: 16
; WaveLimiterHint : 0
; COMPUTE_PGM_RSRC2:SCRATCH_EN: 0
; COMPUTE_PGM_RSRC2:USER_SGPR: 6
; COMPUTE_PGM_RSRC2:TRAP_HANDLER: 0
; COMPUTE_PGM_RSRC2:TGID_X_EN: 1
; COMPUTE_PGM_RSRC2:TGID_Y_EN: 0
; COMPUTE_PGM_RSRC2:TGID_Z_EN: 0
; COMPUTE_PGM_RSRC2:TIDIG_COMP_CNT: 0
	.section	.text._ZN7rocprim17ROCPRIM_400000_NS6detail17trampoline_kernelINS0_14default_configENS1_22reduce_config_selectorImEEZNS1_11reduce_implILb1ES3_N6thrust23THRUST_200600_302600_NS11hip_rocprim35transform_pair_of_input_iterators_tImNS8_6detail15normal_iteratorINS8_10device_ptrIiEEEESF_NS8_12not_equal_toIiEEEEPmmNS8_4plusImEEEE10hipError_tPvRmT1_T2_T3_mT4_P12ihipStream_tbEUlT_E1_NS1_11comp_targetILNS1_3genE3ELNS1_11target_archE908ELNS1_3gpuE7ELNS1_3repE0EEENS1_30default_config_static_selectorELNS0_4arch9wavefront6targetE0EEEvSP_,"axG",@progbits,_ZN7rocprim17ROCPRIM_400000_NS6detail17trampoline_kernelINS0_14default_configENS1_22reduce_config_selectorImEEZNS1_11reduce_implILb1ES3_N6thrust23THRUST_200600_302600_NS11hip_rocprim35transform_pair_of_input_iterators_tImNS8_6detail15normal_iteratorINS8_10device_ptrIiEEEESF_NS8_12not_equal_toIiEEEEPmmNS8_4plusImEEEE10hipError_tPvRmT1_T2_T3_mT4_P12ihipStream_tbEUlT_E1_NS1_11comp_targetILNS1_3genE3ELNS1_11target_archE908ELNS1_3gpuE7ELNS1_3repE0EEENS1_30default_config_static_selectorELNS0_4arch9wavefront6targetE0EEEvSP_,comdat
	.protected	_ZN7rocprim17ROCPRIM_400000_NS6detail17trampoline_kernelINS0_14default_configENS1_22reduce_config_selectorImEEZNS1_11reduce_implILb1ES3_N6thrust23THRUST_200600_302600_NS11hip_rocprim35transform_pair_of_input_iterators_tImNS8_6detail15normal_iteratorINS8_10device_ptrIiEEEESF_NS8_12not_equal_toIiEEEEPmmNS8_4plusImEEEE10hipError_tPvRmT1_T2_T3_mT4_P12ihipStream_tbEUlT_E1_NS1_11comp_targetILNS1_3genE3ELNS1_11target_archE908ELNS1_3gpuE7ELNS1_3repE0EEENS1_30default_config_static_selectorELNS0_4arch9wavefront6targetE0EEEvSP_ ; -- Begin function _ZN7rocprim17ROCPRIM_400000_NS6detail17trampoline_kernelINS0_14default_configENS1_22reduce_config_selectorImEEZNS1_11reduce_implILb1ES3_N6thrust23THRUST_200600_302600_NS11hip_rocprim35transform_pair_of_input_iterators_tImNS8_6detail15normal_iteratorINS8_10device_ptrIiEEEESF_NS8_12not_equal_toIiEEEEPmmNS8_4plusImEEEE10hipError_tPvRmT1_T2_T3_mT4_P12ihipStream_tbEUlT_E1_NS1_11comp_targetILNS1_3genE3ELNS1_11target_archE908ELNS1_3gpuE7ELNS1_3repE0EEENS1_30default_config_static_selectorELNS0_4arch9wavefront6targetE0EEEvSP_
	.globl	_ZN7rocprim17ROCPRIM_400000_NS6detail17trampoline_kernelINS0_14default_configENS1_22reduce_config_selectorImEEZNS1_11reduce_implILb1ES3_N6thrust23THRUST_200600_302600_NS11hip_rocprim35transform_pair_of_input_iterators_tImNS8_6detail15normal_iteratorINS8_10device_ptrIiEEEESF_NS8_12not_equal_toIiEEEEPmmNS8_4plusImEEEE10hipError_tPvRmT1_T2_T3_mT4_P12ihipStream_tbEUlT_E1_NS1_11comp_targetILNS1_3genE3ELNS1_11target_archE908ELNS1_3gpuE7ELNS1_3repE0EEENS1_30default_config_static_selectorELNS0_4arch9wavefront6targetE0EEEvSP_
	.p2align	8
	.type	_ZN7rocprim17ROCPRIM_400000_NS6detail17trampoline_kernelINS0_14default_configENS1_22reduce_config_selectorImEEZNS1_11reduce_implILb1ES3_N6thrust23THRUST_200600_302600_NS11hip_rocprim35transform_pair_of_input_iterators_tImNS8_6detail15normal_iteratorINS8_10device_ptrIiEEEESF_NS8_12not_equal_toIiEEEEPmmNS8_4plusImEEEE10hipError_tPvRmT1_T2_T3_mT4_P12ihipStream_tbEUlT_E1_NS1_11comp_targetILNS1_3genE3ELNS1_11target_archE908ELNS1_3gpuE7ELNS1_3repE0EEENS1_30default_config_static_selectorELNS0_4arch9wavefront6targetE0EEEvSP_,@function
_ZN7rocprim17ROCPRIM_400000_NS6detail17trampoline_kernelINS0_14default_configENS1_22reduce_config_selectorImEEZNS1_11reduce_implILb1ES3_N6thrust23THRUST_200600_302600_NS11hip_rocprim35transform_pair_of_input_iterators_tImNS8_6detail15normal_iteratorINS8_10device_ptrIiEEEESF_NS8_12not_equal_toIiEEEEPmmNS8_4plusImEEEE10hipError_tPvRmT1_T2_T3_mT4_P12ihipStream_tbEUlT_E1_NS1_11comp_targetILNS1_3genE3ELNS1_11target_archE908ELNS1_3gpuE7ELNS1_3repE0EEENS1_30default_config_static_selectorELNS0_4arch9wavefront6targetE0EEEvSP_: ; @_ZN7rocprim17ROCPRIM_400000_NS6detail17trampoline_kernelINS0_14default_configENS1_22reduce_config_selectorImEEZNS1_11reduce_implILb1ES3_N6thrust23THRUST_200600_302600_NS11hip_rocprim35transform_pair_of_input_iterators_tImNS8_6detail15normal_iteratorINS8_10device_ptrIiEEEESF_NS8_12not_equal_toIiEEEEPmmNS8_4plusImEEEE10hipError_tPvRmT1_T2_T3_mT4_P12ihipStream_tbEUlT_E1_NS1_11comp_targetILNS1_3genE3ELNS1_11target_archE908ELNS1_3gpuE7ELNS1_3repE0EEENS1_30default_config_static_selectorELNS0_4arch9wavefront6targetE0EEEvSP_
; %bb.0:
	.section	.rodata,"a",@progbits
	.p2align	6, 0x0
	.amdhsa_kernel _ZN7rocprim17ROCPRIM_400000_NS6detail17trampoline_kernelINS0_14default_configENS1_22reduce_config_selectorImEEZNS1_11reduce_implILb1ES3_N6thrust23THRUST_200600_302600_NS11hip_rocprim35transform_pair_of_input_iterators_tImNS8_6detail15normal_iteratorINS8_10device_ptrIiEEEESF_NS8_12not_equal_toIiEEEEPmmNS8_4plusImEEEE10hipError_tPvRmT1_T2_T3_mT4_P12ihipStream_tbEUlT_E1_NS1_11comp_targetILNS1_3genE3ELNS1_11target_archE908ELNS1_3gpuE7ELNS1_3repE0EEENS1_30default_config_static_selectorELNS0_4arch9wavefront6targetE0EEEvSP_
		.amdhsa_group_segment_fixed_size 0
		.amdhsa_private_segment_fixed_size 0
		.amdhsa_kernarg_size 64
		.amdhsa_user_sgpr_count 6
		.amdhsa_user_sgpr_private_segment_buffer 1
		.amdhsa_user_sgpr_dispatch_ptr 0
		.amdhsa_user_sgpr_queue_ptr 0
		.amdhsa_user_sgpr_kernarg_segment_ptr 1
		.amdhsa_user_sgpr_dispatch_id 0
		.amdhsa_user_sgpr_flat_scratch_init 0
		.amdhsa_user_sgpr_private_segment_size 0
		.amdhsa_wavefront_size32 1
		.amdhsa_uses_dynamic_stack 0
		.amdhsa_system_sgpr_private_segment_wavefront_offset 0
		.amdhsa_system_sgpr_workgroup_id_x 1
		.amdhsa_system_sgpr_workgroup_id_y 0
		.amdhsa_system_sgpr_workgroup_id_z 0
		.amdhsa_system_sgpr_workgroup_info 0
		.amdhsa_system_vgpr_workitem_id 0
		.amdhsa_next_free_vgpr 1
		.amdhsa_next_free_sgpr 1
		.amdhsa_reserve_vcc 0
		.amdhsa_reserve_flat_scratch 0
		.amdhsa_float_round_mode_32 0
		.amdhsa_float_round_mode_16_64 0
		.amdhsa_float_denorm_mode_32 3
		.amdhsa_float_denorm_mode_16_64 3
		.amdhsa_dx10_clamp 1
		.amdhsa_ieee_mode 1
		.amdhsa_fp16_overflow 0
		.amdhsa_workgroup_processor_mode 1
		.amdhsa_memory_ordered 1
		.amdhsa_forward_progress 1
		.amdhsa_shared_vgpr_count 0
		.amdhsa_exception_fp_ieee_invalid_op 0
		.amdhsa_exception_fp_denorm_src 0
		.amdhsa_exception_fp_ieee_div_zero 0
		.amdhsa_exception_fp_ieee_overflow 0
		.amdhsa_exception_fp_ieee_underflow 0
		.amdhsa_exception_fp_ieee_inexact 0
		.amdhsa_exception_int_div_zero 0
	.end_amdhsa_kernel
	.section	.text._ZN7rocprim17ROCPRIM_400000_NS6detail17trampoline_kernelINS0_14default_configENS1_22reduce_config_selectorImEEZNS1_11reduce_implILb1ES3_N6thrust23THRUST_200600_302600_NS11hip_rocprim35transform_pair_of_input_iterators_tImNS8_6detail15normal_iteratorINS8_10device_ptrIiEEEESF_NS8_12not_equal_toIiEEEEPmmNS8_4plusImEEEE10hipError_tPvRmT1_T2_T3_mT4_P12ihipStream_tbEUlT_E1_NS1_11comp_targetILNS1_3genE3ELNS1_11target_archE908ELNS1_3gpuE7ELNS1_3repE0EEENS1_30default_config_static_selectorELNS0_4arch9wavefront6targetE0EEEvSP_,"axG",@progbits,_ZN7rocprim17ROCPRIM_400000_NS6detail17trampoline_kernelINS0_14default_configENS1_22reduce_config_selectorImEEZNS1_11reduce_implILb1ES3_N6thrust23THRUST_200600_302600_NS11hip_rocprim35transform_pair_of_input_iterators_tImNS8_6detail15normal_iteratorINS8_10device_ptrIiEEEESF_NS8_12not_equal_toIiEEEEPmmNS8_4plusImEEEE10hipError_tPvRmT1_T2_T3_mT4_P12ihipStream_tbEUlT_E1_NS1_11comp_targetILNS1_3genE3ELNS1_11target_archE908ELNS1_3gpuE7ELNS1_3repE0EEENS1_30default_config_static_selectorELNS0_4arch9wavefront6targetE0EEEvSP_,comdat
.Lfunc_end50:
	.size	_ZN7rocprim17ROCPRIM_400000_NS6detail17trampoline_kernelINS0_14default_configENS1_22reduce_config_selectorImEEZNS1_11reduce_implILb1ES3_N6thrust23THRUST_200600_302600_NS11hip_rocprim35transform_pair_of_input_iterators_tImNS8_6detail15normal_iteratorINS8_10device_ptrIiEEEESF_NS8_12not_equal_toIiEEEEPmmNS8_4plusImEEEE10hipError_tPvRmT1_T2_T3_mT4_P12ihipStream_tbEUlT_E1_NS1_11comp_targetILNS1_3genE3ELNS1_11target_archE908ELNS1_3gpuE7ELNS1_3repE0EEENS1_30default_config_static_selectorELNS0_4arch9wavefront6targetE0EEEvSP_, .Lfunc_end50-_ZN7rocprim17ROCPRIM_400000_NS6detail17trampoline_kernelINS0_14default_configENS1_22reduce_config_selectorImEEZNS1_11reduce_implILb1ES3_N6thrust23THRUST_200600_302600_NS11hip_rocprim35transform_pair_of_input_iterators_tImNS8_6detail15normal_iteratorINS8_10device_ptrIiEEEESF_NS8_12not_equal_toIiEEEEPmmNS8_4plusImEEEE10hipError_tPvRmT1_T2_T3_mT4_P12ihipStream_tbEUlT_E1_NS1_11comp_targetILNS1_3genE3ELNS1_11target_archE908ELNS1_3gpuE7ELNS1_3repE0EEENS1_30default_config_static_selectorELNS0_4arch9wavefront6targetE0EEEvSP_
                                        ; -- End function
	.set _ZN7rocprim17ROCPRIM_400000_NS6detail17trampoline_kernelINS0_14default_configENS1_22reduce_config_selectorImEEZNS1_11reduce_implILb1ES3_N6thrust23THRUST_200600_302600_NS11hip_rocprim35transform_pair_of_input_iterators_tImNS8_6detail15normal_iteratorINS8_10device_ptrIiEEEESF_NS8_12not_equal_toIiEEEEPmmNS8_4plusImEEEE10hipError_tPvRmT1_T2_T3_mT4_P12ihipStream_tbEUlT_E1_NS1_11comp_targetILNS1_3genE3ELNS1_11target_archE908ELNS1_3gpuE7ELNS1_3repE0EEENS1_30default_config_static_selectorELNS0_4arch9wavefront6targetE0EEEvSP_.num_vgpr, 0
	.set _ZN7rocprim17ROCPRIM_400000_NS6detail17trampoline_kernelINS0_14default_configENS1_22reduce_config_selectorImEEZNS1_11reduce_implILb1ES3_N6thrust23THRUST_200600_302600_NS11hip_rocprim35transform_pair_of_input_iterators_tImNS8_6detail15normal_iteratorINS8_10device_ptrIiEEEESF_NS8_12not_equal_toIiEEEEPmmNS8_4plusImEEEE10hipError_tPvRmT1_T2_T3_mT4_P12ihipStream_tbEUlT_E1_NS1_11comp_targetILNS1_3genE3ELNS1_11target_archE908ELNS1_3gpuE7ELNS1_3repE0EEENS1_30default_config_static_selectorELNS0_4arch9wavefront6targetE0EEEvSP_.num_agpr, 0
	.set _ZN7rocprim17ROCPRIM_400000_NS6detail17trampoline_kernelINS0_14default_configENS1_22reduce_config_selectorImEEZNS1_11reduce_implILb1ES3_N6thrust23THRUST_200600_302600_NS11hip_rocprim35transform_pair_of_input_iterators_tImNS8_6detail15normal_iteratorINS8_10device_ptrIiEEEESF_NS8_12not_equal_toIiEEEEPmmNS8_4plusImEEEE10hipError_tPvRmT1_T2_T3_mT4_P12ihipStream_tbEUlT_E1_NS1_11comp_targetILNS1_3genE3ELNS1_11target_archE908ELNS1_3gpuE7ELNS1_3repE0EEENS1_30default_config_static_selectorELNS0_4arch9wavefront6targetE0EEEvSP_.numbered_sgpr, 0
	.set _ZN7rocprim17ROCPRIM_400000_NS6detail17trampoline_kernelINS0_14default_configENS1_22reduce_config_selectorImEEZNS1_11reduce_implILb1ES3_N6thrust23THRUST_200600_302600_NS11hip_rocprim35transform_pair_of_input_iterators_tImNS8_6detail15normal_iteratorINS8_10device_ptrIiEEEESF_NS8_12not_equal_toIiEEEEPmmNS8_4plusImEEEE10hipError_tPvRmT1_T2_T3_mT4_P12ihipStream_tbEUlT_E1_NS1_11comp_targetILNS1_3genE3ELNS1_11target_archE908ELNS1_3gpuE7ELNS1_3repE0EEENS1_30default_config_static_selectorELNS0_4arch9wavefront6targetE0EEEvSP_.num_named_barrier, 0
	.set _ZN7rocprim17ROCPRIM_400000_NS6detail17trampoline_kernelINS0_14default_configENS1_22reduce_config_selectorImEEZNS1_11reduce_implILb1ES3_N6thrust23THRUST_200600_302600_NS11hip_rocprim35transform_pair_of_input_iterators_tImNS8_6detail15normal_iteratorINS8_10device_ptrIiEEEESF_NS8_12not_equal_toIiEEEEPmmNS8_4plusImEEEE10hipError_tPvRmT1_T2_T3_mT4_P12ihipStream_tbEUlT_E1_NS1_11comp_targetILNS1_3genE3ELNS1_11target_archE908ELNS1_3gpuE7ELNS1_3repE0EEENS1_30default_config_static_selectorELNS0_4arch9wavefront6targetE0EEEvSP_.private_seg_size, 0
	.set _ZN7rocprim17ROCPRIM_400000_NS6detail17trampoline_kernelINS0_14default_configENS1_22reduce_config_selectorImEEZNS1_11reduce_implILb1ES3_N6thrust23THRUST_200600_302600_NS11hip_rocprim35transform_pair_of_input_iterators_tImNS8_6detail15normal_iteratorINS8_10device_ptrIiEEEESF_NS8_12not_equal_toIiEEEEPmmNS8_4plusImEEEE10hipError_tPvRmT1_T2_T3_mT4_P12ihipStream_tbEUlT_E1_NS1_11comp_targetILNS1_3genE3ELNS1_11target_archE908ELNS1_3gpuE7ELNS1_3repE0EEENS1_30default_config_static_selectorELNS0_4arch9wavefront6targetE0EEEvSP_.uses_vcc, 0
	.set _ZN7rocprim17ROCPRIM_400000_NS6detail17trampoline_kernelINS0_14default_configENS1_22reduce_config_selectorImEEZNS1_11reduce_implILb1ES3_N6thrust23THRUST_200600_302600_NS11hip_rocprim35transform_pair_of_input_iterators_tImNS8_6detail15normal_iteratorINS8_10device_ptrIiEEEESF_NS8_12not_equal_toIiEEEEPmmNS8_4plusImEEEE10hipError_tPvRmT1_T2_T3_mT4_P12ihipStream_tbEUlT_E1_NS1_11comp_targetILNS1_3genE3ELNS1_11target_archE908ELNS1_3gpuE7ELNS1_3repE0EEENS1_30default_config_static_selectorELNS0_4arch9wavefront6targetE0EEEvSP_.uses_flat_scratch, 0
	.set _ZN7rocprim17ROCPRIM_400000_NS6detail17trampoline_kernelINS0_14default_configENS1_22reduce_config_selectorImEEZNS1_11reduce_implILb1ES3_N6thrust23THRUST_200600_302600_NS11hip_rocprim35transform_pair_of_input_iterators_tImNS8_6detail15normal_iteratorINS8_10device_ptrIiEEEESF_NS8_12not_equal_toIiEEEEPmmNS8_4plusImEEEE10hipError_tPvRmT1_T2_T3_mT4_P12ihipStream_tbEUlT_E1_NS1_11comp_targetILNS1_3genE3ELNS1_11target_archE908ELNS1_3gpuE7ELNS1_3repE0EEENS1_30default_config_static_selectorELNS0_4arch9wavefront6targetE0EEEvSP_.has_dyn_sized_stack, 0
	.set _ZN7rocprim17ROCPRIM_400000_NS6detail17trampoline_kernelINS0_14default_configENS1_22reduce_config_selectorImEEZNS1_11reduce_implILb1ES3_N6thrust23THRUST_200600_302600_NS11hip_rocprim35transform_pair_of_input_iterators_tImNS8_6detail15normal_iteratorINS8_10device_ptrIiEEEESF_NS8_12not_equal_toIiEEEEPmmNS8_4plusImEEEE10hipError_tPvRmT1_T2_T3_mT4_P12ihipStream_tbEUlT_E1_NS1_11comp_targetILNS1_3genE3ELNS1_11target_archE908ELNS1_3gpuE7ELNS1_3repE0EEENS1_30default_config_static_selectorELNS0_4arch9wavefront6targetE0EEEvSP_.has_recursion, 0
	.set _ZN7rocprim17ROCPRIM_400000_NS6detail17trampoline_kernelINS0_14default_configENS1_22reduce_config_selectorImEEZNS1_11reduce_implILb1ES3_N6thrust23THRUST_200600_302600_NS11hip_rocprim35transform_pair_of_input_iterators_tImNS8_6detail15normal_iteratorINS8_10device_ptrIiEEEESF_NS8_12not_equal_toIiEEEEPmmNS8_4plusImEEEE10hipError_tPvRmT1_T2_T3_mT4_P12ihipStream_tbEUlT_E1_NS1_11comp_targetILNS1_3genE3ELNS1_11target_archE908ELNS1_3gpuE7ELNS1_3repE0EEENS1_30default_config_static_selectorELNS0_4arch9wavefront6targetE0EEEvSP_.has_indirect_call, 0
	.section	.AMDGPU.csdata,"",@progbits
; Kernel info:
; codeLenInByte = 0
; TotalNumSgprs: 0
; NumVgprs: 0
; ScratchSize: 0
; MemoryBound: 0
; FloatMode: 240
; IeeeMode: 1
; LDSByteSize: 0 bytes/workgroup (compile time only)
; SGPRBlocks: 0
; VGPRBlocks: 0
; NumSGPRsForWavesPerEU: 1
; NumVGPRsForWavesPerEU: 1
; Occupancy: 16
; WaveLimiterHint : 0
; COMPUTE_PGM_RSRC2:SCRATCH_EN: 0
; COMPUTE_PGM_RSRC2:USER_SGPR: 6
; COMPUTE_PGM_RSRC2:TRAP_HANDLER: 0
; COMPUTE_PGM_RSRC2:TGID_X_EN: 1
; COMPUTE_PGM_RSRC2:TGID_Y_EN: 0
; COMPUTE_PGM_RSRC2:TGID_Z_EN: 0
; COMPUTE_PGM_RSRC2:TIDIG_COMP_CNT: 0
	.section	.text._ZN7rocprim17ROCPRIM_400000_NS6detail17trampoline_kernelINS0_14default_configENS1_22reduce_config_selectorImEEZNS1_11reduce_implILb1ES3_N6thrust23THRUST_200600_302600_NS11hip_rocprim35transform_pair_of_input_iterators_tImNS8_6detail15normal_iteratorINS8_10device_ptrIiEEEESF_NS8_12not_equal_toIiEEEEPmmNS8_4plusImEEEE10hipError_tPvRmT1_T2_T3_mT4_P12ihipStream_tbEUlT_E1_NS1_11comp_targetILNS1_3genE2ELNS1_11target_archE906ELNS1_3gpuE6ELNS1_3repE0EEENS1_30default_config_static_selectorELNS0_4arch9wavefront6targetE0EEEvSP_,"axG",@progbits,_ZN7rocprim17ROCPRIM_400000_NS6detail17trampoline_kernelINS0_14default_configENS1_22reduce_config_selectorImEEZNS1_11reduce_implILb1ES3_N6thrust23THRUST_200600_302600_NS11hip_rocprim35transform_pair_of_input_iterators_tImNS8_6detail15normal_iteratorINS8_10device_ptrIiEEEESF_NS8_12not_equal_toIiEEEEPmmNS8_4plusImEEEE10hipError_tPvRmT1_T2_T3_mT4_P12ihipStream_tbEUlT_E1_NS1_11comp_targetILNS1_3genE2ELNS1_11target_archE906ELNS1_3gpuE6ELNS1_3repE0EEENS1_30default_config_static_selectorELNS0_4arch9wavefront6targetE0EEEvSP_,comdat
	.protected	_ZN7rocprim17ROCPRIM_400000_NS6detail17trampoline_kernelINS0_14default_configENS1_22reduce_config_selectorImEEZNS1_11reduce_implILb1ES3_N6thrust23THRUST_200600_302600_NS11hip_rocprim35transform_pair_of_input_iterators_tImNS8_6detail15normal_iteratorINS8_10device_ptrIiEEEESF_NS8_12not_equal_toIiEEEEPmmNS8_4plusImEEEE10hipError_tPvRmT1_T2_T3_mT4_P12ihipStream_tbEUlT_E1_NS1_11comp_targetILNS1_3genE2ELNS1_11target_archE906ELNS1_3gpuE6ELNS1_3repE0EEENS1_30default_config_static_selectorELNS0_4arch9wavefront6targetE0EEEvSP_ ; -- Begin function _ZN7rocprim17ROCPRIM_400000_NS6detail17trampoline_kernelINS0_14default_configENS1_22reduce_config_selectorImEEZNS1_11reduce_implILb1ES3_N6thrust23THRUST_200600_302600_NS11hip_rocprim35transform_pair_of_input_iterators_tImNS8_6detail15normal_iteratorINS8_10device_ptrIiEEEESF_NS8_12not_equal_toIiEEEEPmmNS8_4plusImEEEE10hipError_tPvRmT1_T2_T3_mT4_P12ihipStream_tbEUlT_E1_NS1_11comp_targetILNS1_3genE2ELNS1_11target_archE906ELNS1_3gpuE6ELNS1_3repE0EEENS1_30default_config_static_selectorELNS0_4arch9wavefront6targetE0EEEvSP_
	.globl	_ZN7rocprim17ROCPRIM_400000_NS6detail17trampoline_kernelINS0_14default_configENS1_22reduce_config_selectorImEEZNS1_11reduce_implILb1ES3_N6thrust23THRUST_200600_302600_NS11hip_rocprim35transform_pair_of_input_iterators_tImNS8_6detail15normal_iteratorINS8_10device_ptrIiEEEESF_NS8_12not_equal_toIiEEEEPmmNS8_4plusImEEEE10hipError_tPvRmT1_T2_T3_mT4_P12ihipStream_tbEUlT_E1_NS1_11comp_targetILNS1_3genE2ELNS1_11target_archE906ELNS1_3gpuE6ELNS1_3repE0EEENS1_30default_config_static_selectorELNS0_4arch9wavefront6targetE0EEEvSP_
	.p2align	8
	.type	_ZN7rocprim17ROCPRIM_400000_NS6detail17trampoline_kernelINS0_14default_configENS1_22reduce_config_selectorImEEZNS1_11reduce_implILb1ES3_N6thrust23THRUST_200600_302600_NS11hip_rocprim35transform_pair_of_input_iterators_tImNS8_6detail15normal_iteratorINS8_10device_ptrIiEEEESF_NS8_12not_equal_toIiEEEEPmmNS8_4plusImEEEE10hipError_tPvRmT1_T2_T3_mT4_P12ihipStream_tbEUlT_E1_NS1_11comp_targetILNS1_3genE2ELNS1_11target_archE906ELNS1_3gpuE6ELNS1_3repE0EEENS1_30default_config_static_selectorELNS0_4arch9wavefront6targetE0EEEvSP_,@function
_ZN7rocprim17ROCPRIM_400000_NS6detail17trampoline_kernelINS0_14default_configENS1_22reduce_config_selectorImEEZNS1_11reduce_implILb1ES3_N6thrust23THRUST_200600_302600_NS11hip_rocprim35transform_pair_of_input_iterators_tImNS8_6detail15normal_iteratorINS8_10device_ptrIiEEEESF_NS8_12not_equal_toIiEEEEPmmNS8_4plusImEEEE10hipError_tPvRmT1_T2_T3_mT4_P12ihipStream_tbEUlT_E1_NS1_11comp_targetILNS1_3genE2ELNS1_11target_archE906ELNS1_3gpuE6ELNS1_3repE0EEENS1_30default_config_static_selectorELNS0_4arch9wavefront6targetE0EEEvSP_: ; @_ZN7rocprim17ROCPRIM_400000_NS6detail17trampoline_kernelINS0_14default_configENS1_22reduce_config_selectorImEEZNS1_11reduce_implILb1ES3_N6thrust23THRUST_200600_302600_NS11hip_rocprim35transform_pair_of_input_iterators_tImNS8_6detail15normal_iteratorINS8_10device_ptrIiEEEESF_NS8_12not_equal_toIiEEEEPmmNS8_4plusImEEEE10hipError_tPvRmT1_T2_T3_mT4_P12ihipStream_tbEUlT_E1_NS1_11comp_targetILNS1_3genE2ELNS1_11target_archE906ELNS1_3gpuE6ELNS1_3repE0EEENS1_30default_config_static_selectorELNS0_4arch9wavefront6targetE0EEEvSP_
; %bb.0:
	.section	.rodata,"a",@progbits
	.p2align	6, 0x0
	.amdhsa_kernel _ZN7rocprim17ROCPRIM_400000_NS6detail17trampoline_kernelINS0_14default_configENS1_22reduce_config_selectorImEEZNS1_11reduce_implILb1ES3_N6thrust23THRUST_200600_302600_NS11hip_rocprim35transform_pair_of_input_iterators_tImNS8_6detail15normal_iteratorINS8_10device_ptrIiEEEESF_NS8_12not_equal_toIiEEEEPmmNS8_4plusImEEEE10hipError_tPvRmT1_T2_T3_mT4_P12ihipStream_tbEUlT_E1_NS1_11comp_targetILNS1_3genE2ELNS1_11target_archE906ELNS1_3gpuE6ELNS1_3repE0EEENS1_30default_config_static_selectorELNS0_4arch9wavefront6targetE0EEEvSP_
		.amdhsa_group_segment_fixed_size 0
		.amdhsa_private_segment_fixed_size 0
		.amdhsa_kernarg_size 64
		.amdhsa_user_sgpr_count 6
		.amdhsa_user_sgpr_private_segment_buffer 1
		.amdhsa_user_sgpr_dispatch_ptr 0
		.amdhsa_user_sgpr_queue_ptr 0
		.amdhsa_user_sgpr_kernarg_segment_ptr 1
		.amdhsa_user_sgpr_dispatch_id 0
		.amdhsa_user_sgpr_flat_scratch_init 0
		.amdhsa_user_sgpr_private_segment_size 0
		.amdhsa_wavefront_size32 1
		.amdhsa_uses_dynamic_stack 0
		.amdhsa_system_sgpr_private_segment_wavefront_offset 0
		.amdhsa_system_sgpr_workgroup_id_x 1
		.amdhsa_system_sgpr_workgroup_id_y 0
		.amdhsa_system_sgpr_workgroup_id_z 0
		.amdhsa_system_sgpr_workgroup_info 0
		.amdhsa_system_vgpr_workitem_id 0
		.amdhsa_next_free_vgpr 1
		.amdhsa_next_free_sgpr 1
		.amdhsa_reserve_vcc 0
		.amdhsa_reserve_flat_scratch 0
		.amdhsa_float_round_mode_32 0
		.amdhsa_float_round_mode_16_64 0
		.amdhsa_float_denorm_mode_32 3
		.amdhsa_float_denorm_mode_16_64 3
		.amdhsa_dx10_clamp 1
		.amdhsa_ieee_mode 1
		.amdhsa_fp16_overflow 0
		.amdhsa_workgroup_processor_mode 1
		.amdhsa_memory_ordered 1
		.amdhsa_forward_progress 1
		.amdhsa_shared_vgpr_count 0
		.amdhsa_exception_fp_ieee_invalid_op 0
		.amdhsa_exception_fp_denorm_src 0
		.amdhsa_exception_fp_ieee_div_zero 0
		.amdhsa_exception_fp_ieee_overflow 0
		.amdhsa_exception_fp_ieee_underflow 0
		.amdhsa_exception_fp_ieee_inexact 0
		.amdhsa_exception_int_div_zero 0
	.end_amdhsa_kernel
	.section	.text._ZN7rocprim17ROCPRIM_400000_NS6detail17trampoline_kernelINS0_14default_configENS1_22reduce_config_selectorImEEZNS1_11reduce_implILb1ES3_N6thrust23THRUST_200600_302600_NS11hip_rocprim35transform_pair_of_input_iterators_tImNS8_6detail15normal_iteratorINS8_10device_ptrIiEEEESF_NS8_12not_equal_toIiEEEEPmmNS8_4plusImEEEE10hipError_tPvRmT1_T2_T3_mT4_P12ihipStream_tbEUlT_E1_NS1_11comp_targetILNS1_3genE2ELNS1_11target_archE906ELNS1_3gpuE6ELNS1_3repE0EEENS1_30default_config_static_selectorELNS0_4arch9wavefront6targetE0EEEvSP_,"axG",@progbits,_ZN7rocprim17ROCPRIM_400000_NS6detail17trampoline_kernelINS0_14default_configENS1_22reduce_config_selectorImEEZNS1_11reduce_implILb1ES3_N6thrust23THRUST_200600_302600_NS11hip_rocprim35transform_pair_of_input_iterators_tImNS8_6detail15normal_iteratorINS8_10device_ptrIiEEEESF_NS8_12not_equal_toIiEEEEPmmNS8_4plusImEEEE10hipError_tPvRmT1_T2_T3_mT4_P12ihipStream_tbEUlT_E1_NS1_11comp_targetILNS1_3genE2ELNS1_11target_archE906ELNS1_3gpuE6ELNS1_3repE0EEENS1_30default_config_static_selectorELNS0_4arch9wavefront6targetE0EEEvSP_,comdat
.Lfunc_end51:
	.size	_ZN7rocprim17ROCPRIM_400000_NS6detail17trampoline_kernelINS0_14default_configENS1_22reduce_config_selectorImEEZNS1_11reduce_implILb1ES3_N6thrust23THRUST_200600_302600_NS11hip_rocprim35transform_pair_of_input_iterators_tImNS8_6detail15normal_iteratorINS8_10device_ptrIiEEEESF_NS8_12not_equal_toIiEEEEPmmNS8_4plusImEEEE10hipError_tPvRmT1_T2_T3_mT4_P12ihipStream_tbEUlT_E1_NS1_11comp_targetILNS1_3genE2ELNS1_11target_archE906ELNS1_3gpuE6ELNS1_3repE0EEENS1_30default_config_static_selectorELNS0_4arch9wavefront6targetE0EEEvSP_, .Lfunc_end51-_ZN7rocprim17ROCPRIM_400000_NS6detail17trampoline_kernelINS0_14default_configENS1_22reduce_config_selectorImEEZNS1_11reduce_implILb1ES3_N6thrust23THRUST_200600_302600_NS11hip_rocprim35transform_pair_of_input_iterators_tImNS8_6detail15normal_iteratorINS8_10device_ptrIiEEEESF_NS8_12not_equal_toIiEEEEPmmNS8_4plusImEEEE10hipError_tPvRmT1_T2_T3_mT4_P12ihipStream_tbEUlT_E1_NS1_11comp_targetILNS1_3genE2ELNS1_11target_archE906ELNS1_3gpuE6ELNS1_3repE0EEENS1_30default_config_static_selectorELNS0_4arch9wavefront6targetE0EEEvSP_
                                        ; -- End function
	.set _ZN7rocprim17ROCPRIM_400000_NS6detail17trampoline_kernelINS0_14default_configENS1_22reduce_config_selectorImEEZNS1_11reduce_implILb1ES3_N6thrust23THRUST_200600_302600_NS11hip_rocprim35transform_pair_of_input_iterators_tImNS8_6detail15normal_iteratorINS8_10device_ptrIiEEEESF_NS8_12not_equal_toIiEEEEPmmNS8_4plusImEEEE10hipError_tPvRmT1_T2_T3_mT4_P12ihipStream_tbEUlT_E1_NS1_11comp_targetILNS1_3genE2ELNS1_11target_archE906ELNS1_3gpuE6ELNS1_3repE0EEENS1_30default_config_static_selectorELNS0_4arch9wavefront6targetE0EEEvSP_.num_vgpr, 0
	.set _ZN7rocprim17ROCPRIM_400000_NS6detail17trampoline_kernelINS0_14default_configENS1_22reduce_config_selectorImEEZNS1_11reduce_implILb1ES3_N6thrust23THRUST_200600_302600_NS11hip_rocprim35transform_pair_of_input_iterators_tImNS8_6detail15normal_iteratorINS8_10device_ptrIiEEEESF_NS8_12not_equal_toIiEEEEPmmNS8_4plusImEEEE10hipError_tPvRmT1_T2_T3_mT4_P12ihipStream_tbEUlT_E1_NS1_11comp_targetILNS1_3genE2ELNS1_11target_archE906ELNS1_3gpuE6ELNS1_3repE0EEENS1_30default_config_static_selectorELNS0_4arch9wavefront6targetE0EEEvSP_.num_agpr, 0
	.set _ZN7rocprim17ROCPRIM_400000_NS6detail17trampoline_kernelINS0_14default_configENS1_22reduce_config_selectorImEEZNS1_11reduce_implILb1ES3_N6thrust23THRUST_200600_302600_NS11hip_rocprim35transform_pair_of_input_iterators_tImNS8_6detail15normal_iteratorINS8_10device_ptrIiEEEESF_NS8_12not_equal_toIiEEEEPmmNS8_4plusImEEEE10hipError_tPvRmT1_T2_T3_mT4_P12ihipStream_tbEUlT_E1_NS1_11comp_targetILNS1_3genE2ELNS1_11target_archE906ELNS1_3gpuE6ELNS1_3repE0EEENS1_30default_config_static_selectorELNS0_4arch9wavefront6targetE0EEEvSP_.numbered_sgpr, 0
	.set _ZN7rocprim17ROCPRIM_400000_NS6detail17trampoline_kernelINS0_14default_configENS1_22reduce_config_selectorImEEZNS1_11reduce_implILb1ES3_N6thrust23THRUST_200600_302600_NS11hip_rocprim35transform_pair_of_input_iterators_tImNS8_6detail15normal_iteratorINS8_10device_ptrIiEEEESF_NS8_12not_equal_toIiEEEEPmmNS8_4plusImEEEE10hipError_tPvRmT1_T2_T3_mT4_P12ihipStream_tbEUlT_E1_NS1_11comp_targetILNS1_3genE2ELNS1_11target_archE906ELNS1_3gpuE6ELNS1_3repE0EEENS1_30default_config_static_selectorELNS0_4arch9wavefront6targetE0EEEvSP_.num_named_barrier, 0
	.set _ZN7rocprim17ROCPRIM_400000_NS6detail17trampoline_kernelINS0_14default_configENS1_22reduce_config_selectorImEEZNS1_11reduce_implILb1ES3_N6thrust23THRUST_200600_302600_NS11hip_rocprim35transform_pair_of_input_iterators_tImNS8_6detail15normal_iteratorINS8_10device_ptrIiEEEESF_NS8_12not_equal_toIiEEEEPmmNS8_4plusImEEEE10hipError_tPvRmT1_T2_T3_mT4_P12ihipStream_tbEUlT_E1_NS1_11comp_targetILNS1_3genE2ELNS1_11target_archE906ELNS1_3gpuE6ELNS1_3repE0EEENS1_30default_config_static_selectorELNS0_4arch9wavefront6targetE0EEEvSP_.private_seg_size, 0
	.set _ZN7rocprim17ROCPRIM_400000_NS6detail17trampoline_kernelINS0_14default_configENS1_22reduce_config_selectorImEEZNS1_11reduce_implILb1ES3_N6thrust23THRUST_200600_302600_NS11hip_rocprim35transform_pair_of_input_iterators_tImNS8_6detail15normal_iteratorINS8_10device_ptrIiEEEESF_NS8_12not_equal_toIiEEEEPmmNS8_4plusImEEEE10hipError_tPvRmT1_T2_T3_mT4_P12ihipStream_tbEUlT_E1_NS1_11comp_targetILNS1_3genE2ELNS1_11target_archE906ELNS1_3gpuE6ELNS1_3repE0EEENS1_30default_config_static_selectorELNS0_4arch9wavefront6targetE0EEEvSP_.uses_vcc, 0
	.set _ZN7rocprim17ROCPRIM_400000_NS6detail17trampoline_kernelINS0_14default_configENS1_22reduce_config_selectorImEEZNS1_11reduce_implILb1ES3_N6thrust23THRUST_200600_302600_NS11hip_rocprim35transform_pair_of_input_iterators_tImNS8_6detail15normal_iteratorINS8_10device_ptrIiEEEESF_NS8_12not_equal_toIiEEEEPmmNS8_4plusImEEEE10hipError_tPvRmT1_T2_T3_mT4_P12ihipStream_tbEUlT_E1_NS1_11comp_targetILNS1_3genE2ELNS1_11target_archE906ELNS1_3gpuE6ELNS1_3repE0EEENS1_30default_config_static_selectorELNS0_4arch9wavefront6targetE0EEEvSP_.uses_flat_scratch, 0
	.set _ZN7rocprim17ROCPRIM_400000_NS6detail17trampoline_kernelINS0_14default_configENS1_22reduce_config_selectorImEEZNS1_11reduce_implILb1ES3_N6thrust23THRUST_200600_302600_NS11hip_rocprim35transform_pair_of_input_iterators_tImNS8_6detail15normal_iteratorINS8_10device_ptrIiEEEESF_NS8_12not_equal_toIiEEEEPmmNS8_4plusImEEEE10hipError_tPvRmT1_T2_T3_mT4_P12ihipStream_tbEUlT_E1_NS1_11comp_targetILNS1_3genE2ELNS1_11target_archE906ELNS1_3gpuE6ELNS1_3repE0EEENS1_30default_config_static_selectorELNS0_4arch9wavefront6targetE0EEEvSP_.has_dyn_sized_stack, 0
	.set _ZN7rocprim17ROCPRIM_400000_NS6detail17trampoline_kernelINS0_14default_configENS1_22reduce_config_selectorImEEZNS1_11reduce_implILb1ES3_N6thrust23THRUST_200600_302600_NS11hip_rocprim35transform_pair_of_input_iterators_tImNS8_6detail15normal_iteratorINS8_10device_ptrIiEEEESF_NS8_12not_equal_toIiEEEEPmmNS8_4plusImEEEE10hipError_tPvRmT1_T2_T3_mT4_P12ihipStream_tbEUlT_E1_NS1_11comp_targetILNS1_3genE2ELNS1_11target_archE906ELNS1_3gpuE6ELNS1_3repE0EEENS1_30default_config_static_selectorELNS0_4arch9wavefront6targetE0EEEvSP_.has_recursion, 0
	.set _ZN7rocprim17ROCPRIM_400000_NS6detail17trampoline_kernelINS0_14default_configENS1_22reduce_config_selectorImEEZNS1_11reduce_implILb1ES3_N6thrust23THRUST_200600_302600_NS11hip_rocprim35transform_pair_of_input_iterators_tImNS8_6detail15normal_iteratorINS8_10device_ptrIiEEEESF_NS8_12not_equal_toIiEEEEPmmNS8_4plusImEEEE10hipError_tPvRmT1_T2_T3_mT4_P12ihipStream_tbEUlT_E1_NS1_11comp_targetILNS1_3genE2ELNS1_11target_archE906ELNS1_3gpuE6ELNS1_3repE0EEENS1_30default_config_static_selectorELNS0_4arch9wavefront6targetE0EEEvSP_.has_indirect_call, 0
	.section	.AMDGPU.csdata,"",@progbits
; Kernel info:
; codeLenInByte = 0
; TotalNumSgprs: 0
; NumVgprs: 0
; ScratchSize: 0
; MemoryBound: 0
; FloatMode: 240
; IeeeMode: 1
; LDSByteSize: 0 bytes/workgroup (compile time only)
; SGPRBlocks: 0
; VGPRBlocks: 0
; NumSGPRsForWavesPerEU: 1
; NumVGPRsForWavesPerEU: 1
; Occupancy: 16
; WaveLimiterHint : 0
; COMPUTE_PGM_RSRC2:SCRATCH_EN: 0
; COMPUTE_PGM_RSRC2:USER_SGPR: 6
; COMPUTE_PGM_RSRC2:TRAP_HANDLER: 0
; COMPUTE_PGM_RSRC2:TGID_X_EN: 1
; COMPUTE_PGM_RSRC2:TGID_Y_EN: 0
; COMPUTE_PGM_RSRC2:TGID_Z_EN: 0
; COMPUTE_PGM_RSRC2:TIDIG_COMP_CNT: 0
	.section	.text._ZN7rocprim17ROCPRIM_400000_NS6detail17trampoline_kernelINS0_14default_configENS1_22reduce_config_selectorImEEZNS1_11reduce_implILb1ES3_N6thrust23THRUST_200600_302600_NS11hip_rocprim35transform_pair_of_input_iterators_tImNS8_6detail15normal_iteratorINS8_10device_ptrIiEEEESF_NS8_12not_equal_toIiEEEEPmmNS8_4plusImEEEE10hipError_tPvRmT1_T2_T3_mT4_P12ihipStream_tbEUlT_E1_NS1_11comp_targetILNS1_3genE10ELNS1_11target_archE1201ELNS1_3gpuE5ELNS1_3repE0EEENS1_30default_config_static_selectorELNS0_4arch9wavefront6targetE0EEEvSP_,"axG",@progbits,_ZN7rocprim17ROCPRIM_400000_NS6detail17trampoline_kernelINS0_14default_configENS1_22reduce_config_selectorImEEZNS1_11reduce_implILb1ES3_N6thrust23THRUST_200600_302600_NS11hip_rocprim35transform_pair_of_input_iterators_tImNS8_6detail15normal_iteratorINS8_10device_ptrIiEEEESF_NS8_12not_equal_toIiEEEEPmmNS8_4plusImEEEE10hipError_tPvRmT1_T2_T3_mT4_P12ihipStream_tbEUlT_E1_NS1_11comp_targetILNS1_3genE10ELNS1_11target_archE1201ELNS1_3gpuE5ELNS1_3repE0EEENS1_30default_config_static_selectorELNS0_4arch9wavefront6targetE0EEEvSP_,comdat
	.protected	_ZN7rocprim17ROCPRIM_400000_NS6detail17trampoline_kernelINS0_14default_configENS1_22reduce_config_selectorImEEZNS1_11reduce_implILb1ES3_N6thrust23THRUST_200600_302600_NS11hip_rocprim35transform_pair_of_input_iterators_tImNS8_6detail15normal_iteratorINS8_10device_ptrIiEEEESF_NS8_12not_equal_toIiEEEEPmmNS8_4plusImEEEE10hipError_tPvRmT1_T2_T3_mT4_P12ihipStream_tbEUlT_E1_NS1_11comp_targetILNS1_3genE10ELNS1_11target_archE1201ELNS1_3gpuE5ELNS1_3repE0EEENS1_30default_config_static_selectorELNS0_4arch9wavefront6targetE0EEEvSP_ ; -- Begin function _ZN7rocprim17ROCPRIM_400000_NS6detail17trampoline_kernelINS0_14default_configENS1_22reduce_config_selectorImEEZNS1_11reduce_implILb1ES3_N6thrust23THRUST_200600_302600_NS11hip_rocprim35transform_pair_of_input_iterators_tImNS8_6detail15normal_iteratorINS8_10device_ptrIiEEEESF_NS8_12not_equal_toIiEEEEPmmNS8_4plusImEEEE10hipError_tPvRmT1_T2_T3_mT4_P12ihipStream_tbEUlT_E1_NS1_11comp_targetILNS1_3genE10ELNS1_11target_archE1201ELNS1_3gpuE5ELNS1_3repE0EEENS1_30default_config_static_selectorELNS0_4arch9wavefront6targetE0EEEvSP_
	.globl	_ZN7rocprim17ROCPRIM_400000_NS6detail17trampoline_kernelINS0_14default_configENS1_22reduce_config_selectorImEEZNS1_11reduce_implILb1ES3_N6thrust23THRUST_200600_302600_NS11hip_rocprim35transform_pair_of_input_iterators_tImNS8_6detail15normal_iteratorINS8_10device_ptrIiEEEESF_NS8_12not_equal_toIiEEEEPmmNS8_4plusImEEEE10hipError_tPvRmT1_T2_T3_mT4_P12ihipStream_tbEUlT_E1_NS1_11comp_targetILNS1_3genE10ELNS1_11target_archE1201ELNS1_3gpuE5ELNS1_3repE0EEENS1_30default_config_static_selectorELNS0_4arch9wavefront6targetE0EEEvSP_
	.p2align	8
	.type	_ZN7rocprim17ROCPRIM_400000_NS6detail17trampoline_kernelINS0_14default_configENS1_22reduce_config_selectorImEEZNS1_11reduce_implILb1ES3_N6thrust23THRUST_200600_302600_NS11hip_rocprim35transform_pair_of_input_iterators_tImNS8_6detail15normal_iteratorINS8_10device_ptrIiEEEESF_NS8_12not_equal_toIiEEEEPmmNS8_4plusImEEEE10hipError_tPvRmT1_T2_T3_mT4_P12ihipStream_tbEUlT_E1_NS1_11comp_targetILNS1_3genE10ELNS1_11target_archE1201ELNS1_3gpuE5ELNS1_3repE0EEENS1_30default_config_static_selectorELNS0_4arch9wavefront6targetE0EEEvSP_,@function
_ZN7rocprim17ROCPRIM_400000_NS6detail17trampoline_kernelINS0_14default_configENS1_22reduce_config_selectorImEEZNS1_11reduce_implILb1ES3_N6thrust23THRUST_200600_302600_NS11hip_rocprim35transform_pair_of_input_iterators_tImNS8_6detail15normal_iteratorINS8_10device_ptrIiEEEESF_NS8_12not_equal_toIiEEEEPmmNS8_4plusImEEEE10hipError_tPvRmT1_T2_T3_mT4_P12ihipStream_tbEUlT_E1_NS1_11comp_targetILNS1_3genE10ELNS1_11target_archE1201ELNS1_3gpuE5ELNS1_3repE0EEENS1_30default_config_static_selectorELNS0_4arch9wavefront6targetE0EEEvSP_: ; @_ZN7rocprim17ROCPRIM_400000_NS6detail17trampoline_kernelINS0_14default_configENS1_22reduce_config_selectorImEEZNS1_11reduce_implILb1ES3_N6thrust23THRUST_200600_302600_NS11hip_rocprim35transform_pair_of_input_iterators_tImNS8_6detail15normal_iteratorINS8_10device_ptrIiEEEESF_NS8_12not_equal_toIiEEEEPmmNS8_4plusImEEEE10hipError_tPvRmT1_T2_T3_mT4_P12ihipStream_tbEUlT_E1_NS1_11comp_targetILNS1_3genE10ELNS1_11target_archE1201ELNS1_3gpuE5ELNS1_3repE0EEENS1_30default_config_static_selectorELNS0_4arch9wavefront6targetE0EEEvSP_
; %bb.0:
	.section	.rodata,"a",@progbits
	.p2align	6, 0x0
	.amdhsa_kernel _ZN7rocprim17ROCPRIM_400000_NS6detail17trampoline_kernelINS0_14default_configENS1_22reduce_config_selectorImEEZNS1_11reduce_implILb1ES3_N6thrust23THRUST_200600_302600_NS11hip_rocprim35transform_pair_of_input_iterators_tImNS8_6detail15normal_iteratorINS8_10device_ptrIiEEEESF_NS8_12not_equal_toIiEEEEPmmNS8_4plusImEEEE10hipError_tPvRmT1_T2_T3_mT4_P12ihipStream_tbEUlT_E1_NS1_11comp_targetILNS1_3genE10ELNS1_11target_archE1201ELNS1_3gpuE5ELNS1_3repE0EEENS1_30default_config_static_selectorELNS0_4arch9wavefront6targetE0EEEvSP_
		.amdhsa_group_segment_fixed_size 0
		.amdhsa_private_segment_fixed_size 0
		.amdhsa_kernarg_size 64
		.amdhsa_user_sgpr_count 6
		.amdhsa_user_sgpr_private_segment_buffer 1
		.amdhsa_user_sgpr_dispatch_ptr 0
		.amdhsa_user_sgpr_queue_ptr 0
		.amdhsa_user_sgpr_kernarg_segment_ptr 1
		.amdhsa_user_sgpr_dispatch_id 0
		.amdhsa_user_sgpr_flat_scratch_init 0
		.amdhsa_user_sgpr_private_segment_size 0
		.amdhsa_wavefront_size32 1
		.amdhsa_uses_dynamic_stack 0
		.amdhsa_system_sgpr_private_segment_wavefront_offset 0
		.amdhsa_system_sgpr_workgroup_id_x 1
		.amdhsa_system_sgpr_workgroup_id_y 0
		.amdhsa_system_sgpr_workgroup_id_z 0
		.amdhsa_system_sgpr_workgroup_info 0
		.amdhsa_system_vgpr_workitem_id 0
		.amdhsa_next_free_vgpr 1
		.amdhsa_next_free_sgpr 1
		.amdhsa_reserve_vcc 0
		.amdhsa_reserve_flat_scratch 0
		.amdhsa_float_round_mode_32 0
		.amdhsa_float_round_mode_16_64 0
		.amdhsa_float_denorm_mode_32 3
		.amdhsa_float_denorm_mode_16_64 3
		.amdhsa_dx10_clamp 1
		.amdhsa_ieee_mode 1
		.amdhsa_fp16_overflow 0
		.amdhsa_workgroup_processor_mode 1
		.amdhsa_memory_ordered 1
		.amdhsa_forward_progress 1
		.amdhsa_shared_vgpr_count 0
		.amdhsa_exception_fp_ieee_invalid_op 0
		.amdhsa_exception_fp_denorm_src 0
		.amdhsa_exception_fp_ieee_div_zero 0
		.amdhsa_exception_fp_ieee_overflow 0
		.amdhsa_exception_fp_ieee_underflow 0
		.amdhsa_exception_fp_ieee_inexact 0
		.amdhsa_exception_int_div_zero 0
	.end_amdhsa_kernel
	.section	.text._ZN7rocprim17ROCPRIM_400000_NS6detail17trampoline_kernelINS0_14default_configENS1_22reduce_config_selectorImEEZNS1_11reduce_implILb1ES3_N6thrust23THRUST_200600_302600_NS11hip_rocprim35transform_pair_of_input_iterators_tImNS8_6detail15normal_iteratorINS8_10device_ptrIiEEEESF_NS8_12not_equal_toIiEEEEPmmNS8_4plusImEEEE10hipError_tPvRmT1_T2_T3_mT4_P12ihipStream_tbEUlT_E1_NS1_11comp_targetILNS1_3genE10ELNS1_11target_archE1201ELNS1_3gpuE5ELNS1_3repE0EEENS1_30default_config_static_selectorELNS0_4arch9wavefront6targetE0EEEvSP_,"axG",@progbits,_ZN7rocprim17ROCPRIM_400000_NS6detail17trampoline_kernelINS0_14default_configENS1_22reduce_config_selectorImEEZNS1_11reduce_implILb1ES3_N6thrust23THRUST_200600_302600_NS11hip_rocprim35transform_pair_of_input_iterators_tImNS8_6detail15normal_iteratorINS8_10device_ptrIiEEEESF_NS8_12not_equal_toIiEEEEPmmNS8_4plusImEEEE10hipError_tPvRmT1_T2_T3_mT4_P12ihipStream_tbEUlT_E1_NS1_11comp_targetILNS1_3genE10ELNS1_11target_archE1201ELNS1_3gpuE5ELNS1_3repE0EEENS1_30default_config_static_selectorELNS0_4arch9wavefront6targetE0EEEvSP_,comdat
.Lfunc_end52:
	.size	_ZN7rocprim17ROCPRIM_400000_NS6detail17trampoline_kernelINS0_14default_configENS1_22reduce_config_selectorImEEZNS1_11reduce_implILb1ES3_N6thrust23THRUST_200600_302600_NS11hip_rocprim35transform_pair_of_input_iterators_tImNS8_6detail15normal_iteratorINS8_10device_ptrIiEEEESF_NS8_12not_equal_toIiEEEEPmmNS8_4plusImEEEE10hipError_tPvRmT1_T2_T3_mT4_P12ihipStream_tbEUlT_E1_NS1_11comp_targetILNS1_3genE10ELNS1_11target_archE1201ELNS1_3gpuE5ELNS1_3repE0EEENS1_30default_config_static_selectorELNS0_4arch9wavefront6targetE0EEEvSP_, .Lfunc_end52-_ZN7rocprim17ROCPRIM_400000_NS6detail17trampoline_kernelINS0_14default_configENS1_22reduce_config_selectorImEEZNS1_11reduce_implILb1ES3_N6thrust23THRUST_200600_302600_NS11hip_rocprim35transform_pair_of_input_iterators_tImNS8_6detail15normal_iteratorINS8_10device_ptrIiEEEESF_NS8_12not_equal_toIiEEEEPmmNS8_4plusImEEEE10hipError_tPvRmT1_T2_T3_mT4_P12ihipStream_tbEUlT_E1_NS1_11comp_targetILNS1_3genE10ELNS1_11target_archE1201ELNS1_3gpuE5ELNS1_3repE0EEENS1_30default_config_static_selectorELNS0_4arch9wavefront6targetE0EEEvSP_
                                        ; -- End function
	.set _ZN7rocprim17ROCPRIM_400000_NS6detail17trampoline_kernelINS0_14default_configENS1_22reduce_config_selectorImEEZNS1_11reduce_implILb1ES3_N6thrust23THRUST_200600_302600_NS11hip_rocprim35transform_pair_of_input_iterators_tImNS8_6detail15normal_iteratorINS8_10device_ptrIiEEEESF_NS8_12not_equal_toIiEEEEPmmNS8_4plusImEEEE10hipError_tPvRmT1_T2_T3_mT4_P12ihipStream_tbEUlT_E1_NS1_11comp_targetILNS1_3genE10ELNS1_11target_archE1201ELNS1_3gpuE5ELNS1_3repE0EEENS1_30default_config_static_selectorELNS0_4arch9wavefront6targetE0EEEvSP_.num_vgpr, 0
	.set _ZN7rocprim17ROCPRIM_400000_NS6detail17trampoline_kernelINS0_14default_configENS1_22reduce_config_selectorImEEZNS1_11reduce_implILb1ES3_N6thrust23THRUST_200600_302600_NS11hip_rocprim35transform_pair_of_input_iterators_tImNS8_6detail15normal_iteratorINS8_10device_ptrIiEEEESF_NS8_12not_equal_toIiEEEEPmmNS8_4plusImEEEE10hipError_tPvRmT1_T2_T3_mT4_P12ihipStream_tbEUlT_E1_NS1_11comp_targetILNS1_3genE10ELNS1_11target_archE1201ELNS1_3gpuE5ELNS1_3repE0EEENS1_30default_config_static_selectorELNS0_4arch9wavefront6targetE0EEEvSP_.num_agpr, 0
	.set _ZN7rocprim17ROCPRIM_400000_NS6detail17trampoline_kernelINS0_14default_configENS1_22reduce_config_selectorImEEZNS1_11reduce_implILb1ES3_N6thrust23THRUST_200600_302600_NS11hip_rocprim35transform_pair_of_input_iterators_tImNS8_6detail15normal_iteratorINS8_10device_ptrIiEEEESF_NS8_12not_equal_toIiEEEEPmmNS8_4plusImEEEE10hipError_tPvRmT1_T2_T3_mT4_P12ihipStream_tbEUlT_E1_NS1_11comp_targetILNS1_3genE10ELNS1_11target_archE1201ELNS1_3gpuE5ELNS1_3repE0EEENS1_30default_config_static_selectorELNS0_4arch9wavefront6targetE0EEEvSP_.numbered_sgpr, 0
	.set _ZN7rocprim17ROCPRIM_400000_NS6detail17trampoline_kernelINS0_14default_configENS1_22reduce_config_selectorImEEZNS1_11reduce_implILb1ES3_N6thrust23THRUST_200600_302600_NS11hip_rocprim35transform_pair_of_input_iterators_tImNS8_6detail15normal_iteratorINS8_10device_ptrIiEEEESF_NS8_12not_equal_toIiEEEEPmmNS8_4plusImEEEE10hipError_tPvRmT1_T2_T3_mT4_P12ihipStream_tbEUlT_E1_NS1_11comp_targetILNS1_3genE10ELNS1_11target_archE1201ELNS1_3gpuE5ELNS1_3repE0EEENS1_30default_config_static_selectorELNS0_4arch9wavefront6targetE0EEEvSP_.num_named_barrier, 0
	.set _ZN7rocprim17ROCPRIM_400000_NS6detail17trampoline_kernelINS0_14default_configENS1_22reduce_config_selectorImEEZNS1_11reduce_implILb1ES3_N6thrust23THRUST_200600_302600_NS11hip_rocprim35transform_pair_of_input_iterators_tImNS8_6detail15normal_iteratorINS8_10device_ptrIiEEEESF_NS8_12not_equal_toIiEEEEPmmNS8_4plusImEEEE10hipError_tPvRmT1_T2_T3_mT4_P12ihipStream_tbEUlT_E1_NS1_11comp_targetILNS1_3genE10ELNS1_11target_archE1201ELNS1_3gpuE5ELNS1_3repE0EEENS1_30default_config_static_selectorELNS0_4arch9wavefront6targetE0EEEvSP_.private_seg_size, 0
	.set _ZN7rocprim17ROCPRIM_400000_NS6detail17trampoline_kernelINS0_14default_configENS1_22reduce_config_selectorImEEZNS1_11reduce_implILb1ES3_N6thrust23THRUST_200600_302600_NS11hip_rocprim35transform_pair_of_input_iterators_tImNS8_6detail15normal_iteratorINS8_10device_ptrIiEEEESF_NS8_12not_equal_toIiEEEEPmmNS8_4plusImEEEE10hipError_tPvRmT1_T2_T3_mT4_P12ihipStream_tbEUlT_E1_NS1_11comp_targetILNS1_3genE10ELNS1_11target_archE1201ELNS1_3gpuE5ELNS1_3repE0EEENS1_30default_config_static_selectorELNS0_4arch9wavefront6targetE0EEEvSP_.uses_vcc, 0
	.set _ZN7rocprim17ROCPRIM_400000_NS6detail17trampoline_kernelINS0_14default_configENS1_22reduce_config_selectorImEEZNS1_11reduce_implILb1ES3_N6thrust23THRUST_200600_302600_NS11hip_rocprim35transform_pair_of_input_iterators_tImNS8_6detail15normal_iteratorINS8_10device_ptrIiEEEESF_NS8_12not_equal_toIiEEEEPmmNS8_4plusImEEEE10hipError_tPvRmT1_T2_T3_mT4_P12ihipStream_tbEUlT_E1_NS1_11comp_targetILNS1_3genE10ELNS1_11target_archE1201ELNS1_3gpuE5ELNS1_3repE0EEENS1_30default_config_static_selectorELNS0_4arch9wavefront6targetE0EEEvSP_.uses_flat_scratch, 0
	.set _ZN7rocprim17ROCPRIM_400000_NS6detail17trampoline_kernelINS0_14default_configENS1_22reduce_config_selectorImEEZNS1_11reduce_implILb1ES3_N6thrust23THRUST_200600_302600_NS11hip_rocprim35transform_pair_of_input_iterators_tImNS8_6detail15normal_iteratorINS8_10device_ptrIiEEEESF_NS8_12not_equal_toIiEEEEPmmNS8_4plusImEEEE10hipError_tPvRmT1_T2_T3_mT4_P12ihipStream_tbEUlT_E1_NS1_11comp_targetILNS1_3genE10ELNS1_11target_archE1201ELNS1_3gpuE5ELNS1_3repE0EEENS1_30default_config_static_selectorELNS0_4arch9wavefront6targetE0EEEvSP_.has_dyn_sized_stack, 0
	.set _ZN7rocprim17ROCPRIM_400000_NS6detail17trampoline_kernelINS0_14default_configENS1_22reduce_config_selectorImEEZNS1_11reduce_implILb1ES3_N6thrust23THRUST_200600_302600_NS11hip_rocprim35transform_pair_of_input_iterators_tImNS8_6detail15normal_iteratorINS8_10device_ptrIiEEEESF_NS8_12not_equal_toIiEEEEPmmNS8_4plusImEEEE10hipError_tPvRmT1_T2_T3_mT4_P12ihipStream_tbEUlT_E1_NS1_11comp_targetILNS1_3genE10ELNS1_11target_archE1201ELNS1_3gpuE5ELNS1_3repE0EEENS1_30default_config_static_selectorELNS0_4arch9wavefront6targetE0EEEvSP_.has_recursion, 0
	.set _ZN7rocprim17ROCPRIM_400000_NS6detail17trampoline_kernelINS0_14default_configENS1_22reduce_config_selectorImEEZNS1_11reduce_implILb1ES3_N6thrust23THRUST_200600_302600_NS11hip_rocprim35transform_pair_of_input_iterators_tImNS8_6detail15normal_iteratorINS8_10device_ptrIiEEEESF_NS8_12not_equal_toIiEEEEPmmNS8_4plusImEEEE10hipError_tPvRmT1_T2_T3_mT4_P12ihipStream_tbEUlT_E1_NS1_11comp_targetILNS1_3genE10ELNS1_11target_archE1201ELNS1_3gpuE5ELNS1_3repE0EEENS1_30default_config_static_selectorELNS0_4arch9wavefront6targetE0EEEvSP_.has_indirect_call, 0
	.section	.AMDGPU.csdata,"",@progbits
; Kernel info:
; codeLenInByte = 0
; TotalNumSgprs: 0
; NumVgprs: 0
; ScratchSize: 0
; MemoryBound: 0
; FloatMode: 240
; IeeeMode: 1
; LDSByteSize: 0 bytes/workgroup (compile time only)
; SGPRBlocks: 0
; VGPRBlocks: 0
; NumSGPRsForWavesPerEU: 1
; NumVGPRsForWavesPerEU: 1
; Occupancy: 16
; WaveLimiterHint : 0
; COMPUTE_PGM_RSRC2:SCRATCH_EN: 0
; COMPUTE_PGM_RSRC2:USER_SGPR: 6
; COMPUTE_PGM_RSRC2:TRAP_HANDLER: 0
; COMPUTE_PGM_RSRC2:TGID_X_EN: 1
; COMPUTE_PGM_RSRC2:TGID_Y_EN: 0
; COMPUTE_PGM_RSRC2:TGID_Z_EN: 0
; COMPUTE_PGM_RSRC2:TIDIG_COMP_CNT: 0
	.section	.text._ZN7rocprim17ROCPRIM_400000_NS6detail17trampoline_kernelINS0_14default_configENS1_22reduce_config_selectorImEEZNS1_11reduce_implILb1ES3_N6thrust23THRUST_200600_302600_NS11hip_rocprim35transform_pair_of_input_iterators_tImNS8_6detail15normal_iteratorINS8_10device_ptrIiEEEESF_NS8_12not_equal_toIiEEEEPmmNS8_4plusImEEEE10hipError_tPvRmT1_T2_T3_mT4_P12ihipStream_tbEUlT_E1_NS1_11comp_targetILNS1_3genE10ELNS1_11target_archE1200ELNS1_3gpuE4ELNS1_3repE0EEENS1_30default_config_static_selectorELNS0_4arch9wavefront6targetE0EEEvSP_,"axG",@progbits,_ZN7rocprim17ROCPRIM_400000_NS6detail17trampoline_kernelINS0_14default_configENS1_22reduce_config_selectorImEEZNS1_11reduce_implILb1ES3_N6thrust23THRUST_200600_302600_NS11hip_rocprim35transform_pair_of_input_iterators_tImNS8_6detail15normal_iteratorINS8_10device_ptrIiEEEESF_NS8_12not_equal_toIiEEEEPmmNS8_4plusImEEEE10hipError_tPvRmT1_T2_T3_mT4_P12ihipStream_tbEUlT_E1_NS1_11comp_targetILNS1_3genE10ELNS1_11target_archE1200ELNS1_3gpuE4ELNS1_3repE0EEENS1_30default_config_static_selectorELNS0_4arch9wavefront6targetE0EEEvSP_,comdat
	.protected	_ZN7rocprim17ROCPRIM_400000_NS6detail17trampoline_kernelINS0_14default_configENS1_22reduce_config_selectorImEEZNS1_11reduce_implILb1ES3_N6thrust23THRUST_200600_302600_NS11hip_rocprim35transform_pair_of_input_iterators_tImNS8_6detail15normal_iteratorINS8_10device_ptrIiEEEESF_NS8_12not_equal_toIiEEEEPmmNS8_4plusImEEEE10hipError_tPvRmT1_T2_T3_mT4_P12ihipStream_tbEUlT_E1_NS1_11comp_targetILNS1_3genE10ELNS1_11target_archE1200ELNS1_3gpuE4ELNS1_3repE0EEENS1_30default_config_static_selectorELNS0_4arch9wavefront6targetE0EEEvSP_ ; -- Begin function _ZN7rocprim17ROCPRIM_400000_NS6detail17trampoline_kernelINS0_14default_configENS1_22reduce_config_selectorImEEZNS1_11reduce_implILb1ES3_N6thrust23THRUST_200600_302600_NS11hip_rocprim35transform_pair_of_input_iterators_tImNS8_6detail15normal_iteratorINS8_10device_ptrIiEEEESF_NS8_12not_equal_toIiEEEEPmmNS8_4plusImEEEE10hipError_tPvRmT1_T2_T3_mT4_P12ihipStream_tbEUlT_E1_NS1_11comp_targetILNS1_3genE10ELNS1_11target_archE1200ELNS1_3gpuE4ELNS1_3repE0EEENS1_30default_config_static_selectorELNS0_4arch9wavefront6targetE0EEEvSP_
	.globl	_ZN7rocprim17ROCPRIM_400000_NS6detail17trampoline_kernelINS0_14default_configENS1_22reduce_config_selectorImEEZNS1_11reduce_implILb1ES3_N6thrust23THRUST_200600_302600_NS11hip_rocprim35transform_pair_of_input_iterators_tImNS8_6detail15normal_iteratorINS8_10device_ptrIiEEEESF_NS8_12not_equal_toIiEEEEPmmNS8_4plusImEEEE10hipError_tPvRmT1_T2_T3_mT4_P12ihipStream_tbEUlT_E1_NS1_11comp_targetILNS1_3genE10ELNS1_11target_archE1200ELNS1_3gpuE4ELNS1_3repE0EEENS1_30default_config_static_selectorELNS0_4arch9wavefront6targetE0EEEvSP_
	.p2align	8
	.type	_ZN7rocprim17ROCPRIM_400000_NS6detail17trampoline_kernelINS0_14default_configENS1_22reduce_config_selectorImEEZNS1_11reduce_implILb1ES3_N6thrust23THRUST_200600_302600_NS11hip_rocprim35transform_pair_of_input_iterators_tImNS8_6detail15normal_iteratorINS8_10device_ptrIiEEEESF_NS8_12not_equal_toIiEEEEPmmNS8_4plusImEEEE10hipError_tPvRmT1_T2_T3_mT4_P12ihipStream_tbEUlT_E1_NS1_11comp_targetILNS1_3genE10ELNS1_11target_archE1200ELNS1_3gpuE4ELNS1_3repE0EEENS1_30default_config_static_selectorELNS0_4arch9wavefront6targetE0EEEvSP_,@function
_ZN7rocprim17ROCPRIM_400000_NS6detail17trampoline_kernelINS0_14default_configENS1_22reduce_config_selectorImEEZNS1_11reduce_implILb1ES3_N6thrust23THRUST_200600_302600_NS11hip_rocprim35transform_pair_of_input_iterators_tImNS8_6detail15normal_iteratorINS8_10device_ptrIiEEEESF_NS8_12not_equal_toIiEEEEPmmNS8_4plusImEEEE10hipError_tPvRmT1_T2_T3_mT4_P12ihipStream_tbEUlT_E1_NS1_11comp_targetILNS1_3genE10ELNS1_11target_archE1200ELNS1_3gpuE4ELNS1_3repE0EEENS1_30default_config_static_selectorELNS0_4arch9wavefront6targetE0EEEvSP_: ; @_ZN7rocprim17ROCPRIM_400000_NS6detail17trampoline_kernelINS0_14default_configENS1_22reduce_config_selectorImEEZNS1_11reduce_implILb1ES3_N6thrust23THRUST_200600_302600_NS11hip_rocprim35transform_pair_of_input_iterators_tImNS8_6detail15normal_iteratorINS8_10device_ptrIiEEEESF_NS8_12not_equal_toIiEEEEPmmNS8_4plusImEEEE10hipError_tPvRmT1_T2_T3_mT4_P12ihipStream_tbEUlT_E1_NS1_11comp_targetILNS1_3genE10ELNS1_11target_archE1200ELNS1_3gpuE4ELNS1_3repE0EEENS1_30default_config_static_selectorELNS0_4arch9wavefront6targetE0EEEvSP_
; %bb.0:
	.section	.rodata,"a",@progbits
	.p2align	6, 0x0
	.amdhsa_kernel _ZN7rocprim17ROCPRIM_400000_NS6detail17trampoline_kernelINS0_14default_configENS1_22reduce_config_selectorImEEZNS1_11reduce_implILb1ES3_N6thrust23THRUST_200600_302600_NS11hip_rocprim35transform_pair_of_input_iterators_tImNS8_6detail15normal_iteratorINS8_10device_ptrIiEEEESF_NS8_12not_equal_toIiEEEEPmmNS8_4plusImEEEE10hipError_tPvRmT1_T2_T3_mT4_P12ihipStream_tbEUlT_E1_NS1_11comp_targetILNS1_3genE10ELNS1_11target_archE1200ELNS1_3gpuE4ELNS1_3repE0EEENS1_30default_config_static_selectorELNS0_4arch9wavefront6targetE0EEEvSP_
		.amdhsa_group_segment_fixed_size 0
		.amdhsa_private_segment_fixed_size 0
		.amdhsa_kernarg_size 64
		.amdhsa_user_sgpr_count 6
		.amdhsa_user_sgpr_private_segment_buffer 1
		.amdhsa_user_sgpr_dispatch_ptr 0
		.amdhsa_user_sgpr_queue_ptr 0
		.amdhsa_user_sgpr_kernarg_segment_ptr 1
		.amdhsa_user_sgpr_dispatch_id 0
		.amdhsa_user_sgpr_flat_scratch_init 0
		.amdhsa_user_sgpr_private_segment_size 0
		.amdhsa_wavefront_size32 1
		.amdhsa_uses_dynamic_stack 0
		.amdhsa_system_sgpr_private_segment_wavefront_offset 0
		.amdhsa_system_sgpr_workgroup_id_x 1
		.amdhsa_system_sgpr_workgroup_id_y 0
		.amdhsa_system_sgpr_workgroup_id_z 0
		.amdhsa_system_sgpr_workgroup_info 0
		.amdhsa_system_vgpr_workitem_id 0
		.amdhsa_next_free_vgpr 1
		.amdhsa_next_free_sgpr 1
		.amdhsa_reserve_vcc 0
		.amdhsa_reserve_flat_scratch 0
		.amdhsa_float_round_mode_32 0
		.amdhsa_float_round_mode_16_64 0
		.amdhsa_float_denorm_mode_32 3
		.amdhsa_float_denorm_mode_16_64 3
		.amdhsa_dx10_clamp 1
		.amdhsa_ieee_mode 1
		.amdhsa_fp16_overflow 0
		.amdhsa_workgroup_processor_mode 1
		.amdhsa_memory_ordered 1
		.amdhsa_forward_progress 1
		.amdhsa_shared_vgpr_count 0
		.amdhsa_exception_fp_ieee_invalid_op 0
		.amdhsa_exception_fp_denorm_src 0
		.amdhsa_exception_fp_ieee_div_zero 0
		.amdhsa_exception_fp_ieee_overflow 0
		.amdhsa_exception_fp_ieee_underflow 0
		.amdhsa_exception_fp_ieee_inexact 0
		.amdhsa_exception_int_div_zero 0
	.end_amdhsa_kernel
	.section	.text._ZN7rocprim17ROCPRIM_400000_NS6detail17trampoline_kernelINS0_14default_configENS1_22reduce_config_selectorImEEZNS1_11reduce_implILb1ES3_N6thrust23THRUST_200600_302600_NS11hip_rocprim35transform_pair_of_input_iterators_tImNS8_6detail15normal_iteratorINS8_10device_ptrIiEEEESF_NS8_12not_equal_toIiEEEEPmmNS8_4plusImEEEE10hipError_tPvRmT1_T2_T3_mT4_P12ihipStream_tbEUlT_E1_NS1_11comp_targetILNS1_3genE10ELNS1_11target_archE1200ELNS1_3gpuE4ELNS1_3repE0EEENS1_30default_config_static_selectorELNS0_4arch9wavefront6targetE0EEEvSP_,"axG",@progbits,_ZN7rocprim17ROCPRIM_400000_NS6detail17trampoline_kernelINS0_14default_configENS1_22reduce_config_selectorImEEZNS1_11reduce_implILb1ES3_N6thrust23THRUST_200600_302600_NS11hip_rocprim35transform_pair_of_input_iterators_tImNS8_6detail15normal_iteratorINS8_10device_ptrIiEEEESF_NS8_12not_equal_toIiEEEEPmmNS8_4plusImEEEE10hipError_tPvRmT1_T2_T3_mT4_P12ihipStream_tbEUlT_E1_NS1_11comp_targetILNS1_3genE10ELNS1_11target_archE1200ELNS1_3gpuE4ELNS1_3repE0EEENS1_30default_config_static_selectorELNS0_4arch9wavefront6targetE0EEEvSP_,comdat
.Lfunc_end53:
	.size	_ZN7rocprim17ROCPRIM_400000_NS6detail17trampoline_kernelINS0_14default_configENS1_22reduce_config_selectorImEEZNS1_11reduce_implILb1ES3_N6thrust23THRUST_200600_302600_NS11hip_rocprim35transform_pair_of_input_iterators_tImNS8_6detail15normal_iteratorINS8_10device_ptrIiEEEESF_NS8_12not_equal_toIiEEEEPmmNS8_4plusImEEEE10hipError_tPvRmT1_T2_T3_mT4_P12ihipStream_tbEUlT_E1_NS1_11comp_targetILNS1_3genE10ELNS1_11target_archE1200ELNS1_3gpuE4ELNS1_3repE0EEENS1_30default_config_static_selectorELNS0_4arch9wavefront6targetE0EEEvSP_, .Lfunc_end53-_ZN7rocprim17ROCPRIM_400000_NS6detail17trampoline_kernelINS0_14default_configENS1_22reduce_config_selectorImEEZNS1_11reduce_implILb1ES3_N6thrust23THRUST_200600_302600_NS11hip_rocprim35transform_pair_of_input_iterators_tImNS8_6detail15normal_iteratorINS8_10device_ptrIiEEEESF_NS8_12not_equal_toIiEEEEPmmNS8_4plusImEEEE10hipError_tPvRmT1_T2_T3_mT4_P12ihipStream_tbEUlT_E1_NS1_11comp_targetILNS1_3genE10ELNS1_11target_archE1200ELNS1_3gpuE4ELNS1_3repE0EEENS1_30default_config_static_selectorELNS0_4arch9wavefront6targetE0EEEvSP_
                                        ; -- End function
	.set _ZN7rocprim17ROCPRIM_400000_NS6detail17trampoline_kernelINS0_14default_configENS1_22reduce_config_selectorImEEZNS1_11reduce_implILb1ES3_N6thrust23THRUST_200600_302600_NS11hip_rocprim35transform_pair_of_input_iterators_tImNS8_6detail15normal_iteratorINS8_10device_ptrIiEEEESF_NS8_12not_equal_toIiEEEEPmmNS8_4plusImEEEE10hipError_tPvRmT1_T2_T3_mT4_P12ihipStream_tbEUlT_E1_NS1_11comp_targetILNS1_3genE10ELNS1_11target_archE1200ELNS1_3gpuE4ELNS1_3repE0EEENS1_30default_config_static_selectorELNS0_4arch9wavefront6targetE0EEEvSP_.num_vgpr, 0
	.set _ZN7rocprim17ROCPRIM_400000_NS6detail17trampoline_kernelINS0_14default_configENS1_22reduce_config_selectorImEEZNS1_11reduce_implILb1ES3_N6thrust23THRUST_200600_302600_NS11hip_rocprim35transform_pair_of_input_iterators_tImNS8_6detail15normal_iteratorINS8_10device_ptrIiEEEESF_NS8_12not_equal_toIiEEEEPmmNS8_4plusImEEEE10hipError_tPvRmT1_T2_T3_mT4_P12ihipStream_tbEUlT_E1_NS1_11comp_targetILNS1_3genE10ELNS1_11target_archE1200ELNS1_3gpuE4ELNS1_3repE0EEENS1_30default_config_static_selectorELNS0_4arch9wavefront6targetE0EEEvSP_.num_agpr, 0
	.set _ZN7rocprim17ROCPRIM_400000_NS6detail17trampoline_kernelINS0_14default_configENS1_22reduce_config_selectorImEEZNS1_11reduce_implILb1ES3_N6thrust23THRUST_200600_302600_NS11hip_rocprim35transform_pair_of_input_iterators_tImNS8_6detail15normal_iteratorINS8_10device_ptrIiEEEESF_NS8_12not_equal_toIiEEEEPmmNS8_4plusImEEEE10hipError_tPvRmT1_T2_T3_mT4_P12ihipStream_tbEUlT_E1_NS1_11comp_targetILNS1_3genE10ELNS1_11target_archE1200ELNS1_3gpuE4ELNS1_3repE0EEENS1_30default_config_static_selectorELNS0_4arch9wavefront6targetE0EEEvSP_.numbered_sgpr, 0
	.set _ZN7rocprim17ROCPRIM_400000_NS6detail17trampoline_kernelINS0_14default_configENS1_22reduce_config_selectorImEEZNS1_11reduce_implILb1ES3_N6thrust23THRUST_200600_302600_NS11hip_rocprim35transform_pair_of_input_iterators_tImNS8_6detail15normal_iteratorINS8_10device_ptrIiEEEESF_NS8_12not_equal_toIiEEEEPmmNS8_4plusImEEEE10hipError_tPvRmT1_T2_T3_mT4_P12ihipStream_tbEUlT_E1_NS1_11comp_targetILNS1_3genE10ELNS1_11target_archE1200ELNS1_3gpuE4ELNS1_3repE0EEENS1_30default_config_static_selectorELNS0_4arch9wavefront6targetE0EEEvSP_.num_named_barrier, 0
	.set _ZN7rocprim17ROCPRIM_400000_NS6detail17trampoline_kernelINS0_14default_configENS1_22reduce_config_selectorImEEZNS1_11reduce_implILb1ES3_N6thrust23THRUST_200600_302600_NS11hip_rocprim35transform_pair_of_input_iterators_tImNS8_6detail15normal_iteratorINS8_10device_ptrIiEEEESF_NS8_12not_equal_toIiEEEEPmmNS8_4plusImEEEE10hipError_tPvRmT1_T2_T3_mT4_P12ihipStream_tbEUlT_E1_NS1_11comp_targetILNS1_3genE10ELNS1_11target_archE1200ELNS1_3gpuE4ELNS1_3repE0EEENS1_30default_config_static_selectorELNS0_4arch9wavefront6targetE0EEEvSP_.private_seg_size, 0
	.set _ZN7rocprim17ROCPRIM_400000_NS6detail17trampoline_kernelINS0_14default_configENS1_22reduce_config_selectorImEEZNS1_11reduce_implILb1ES3_N6thrust23THRUST_200600_302600_NS11hip_rocprim35transform_pair_of_input_iterators_tImNS8_6detail15normal_iteratorINS8_10device_ptrIiEEEESF_NS8_12not_equal_toIiEEEEPmmNS8_4plusImEEEE10hipError_tPvRmT1_T2_T3_mT4_P12ihipStream_tbEUlT_E1_NS1_11comp_targetILNS1_3genE10ELNS1_11target_archE1200ELNS1_3gpuE4ELNS1_3repE0EEENS1_30default_config_static_selectorELNS0_4arch9wavefront6targetE0EEEvSP_.uses_vcc, 0
	.set _ZN7rocprim17ROCPRIM_400000_NS6detail17trampoline_kernelINS0_14default_configENS1_22reduce_config_selectorImEEZNS1_11reduce_implILb1ES3_N6thrust23THRUST_200600_302600_NS11hip_rocprim35transform_pair_of_input_iterators_tImNS8_6detail15normal_iteratorINS8_10device_ptrIiEEEESF_NS8_12not_equal_toIiEEEEPmmNS8_4plusImEEEE10hipError_tPvRmT1_T2_T3_mT4_P12ihipStream_tbEUlT_E1_NS1_11comp_targetILNS1_3genE10ELNS1_11target_archE1200ELNS1_3gpuE4ELNS1_3repE0EEENS1_30default_config_static_selectorELNS0_4arch9wavefront6targetE0EEEvSP_.uses_flat_scratch, 0
	.set _ZN7rocprim17ROCPRIM_400000_NS6detail17trampoline_kernelINS0_14default_configENS1_22reduce_config_selectorImEEZNS1_11reduce_implILb1ES3_N6thrust23THRUST_200600_302600_NS11hip_rocprim35transform_pair_of_input_iterators_tImNS8_6detail15normal_iteratorINS8_10device_ptrIiEEEESF_NS8_12not_equal_toIiEEEEPmmNS8_4plusImEEEE10hipError_tPvRmT1_T2_T3_mT4_P12ihipStream_tbEUlT_E1_NS1_11comp_targetILNS1_3genE10ELNS1_11target_archE1200ELNS1_3gpuE4ELNS1_3repE0EEENS1_30default_config_static_selectorELNS0_4arch9wavefront6targetE0EEEvSP_.has_dyn_sized_stack, 0
	.set _ZN7rocprim17ROCPRIM_400000_NS6detail17trampoline_kernelINS0_14default_configENS1_22reduce_config_selectorImEEZNS1_11reduce_implILb1ES3_N6thrust23THRUST_200600_302600_NS11hip_rocprim35transform_pair_of_input_iterators_tImNS8_6detail15normal_iteratorINS8_10device_ptrIiEEEESF_NS8_12not_equal_toIiEEEEPmmNS8_4plusImEEEE10hipError_tPvRmT1_T2_T3_mT4_P12ihipStream_tbEUlT_E1_NS1_11comp_targetILNS1_3genE10ELNS1_11target_archE1200ELNS1_3gpuE4ELNS1_3repE0EEENS1_30default_config_static_selectorELNS0_4arch9wavefront6targetE0EEEvSP_.has_recursion, 0
	.set _ZN7rocprim17ROCPRIM_400000_NS6detail17trampoline_kernelINS0_14default_configENS1_22reduce_config_selectorImEEZNS1_11reduce_implILb1ES3_N6thrust23THRUST_200600_302600_NS11hip_rocprim35transform_pair_of_input_iterators_tImNS8_6detail15normal_iteratorINS8_10device_ptrIiEEEESF_NS8_12not_equal_toIiEEEEPmmNS8_4plusImEEEE10hipError_tPvRmT1_T2_T3_mT4_P12ihipStream_tbEUlT_E1_NS1_11comp_targetILNS1_3genE10ELNS1_11target_archE1200ELNS1_3gpuE4ELNS1_3repE0EEENS1_30default_config_static_selectorELNS0_4arch9wavefront6targetE0EEEvSP_.has_indirect_call, 0
	.section	.AMDGPU.csdata,"",@progbits
; Kernel info:
; codeLenInByte = 0
; TotalNumSgprs: 0
; NumVgprs: 0
; ScratchSize: 0
; MemoryBound: 0
; FloatMode: 240
; IeeeMode: 1
; LDSByteSize: 0 bytes/workgroup (compile time only)
; SGPRBlocks: 0
; VGPRBlocks: 0
; NumSGPRsForWavesPerEU: 1
; NumVGPRsForWavesPerEU: 1
; Occupancy: 16
; WaveLimiterHint : 0
; COMPUTE_PGM_RSRC2:SCRATCH_EN: 0
; COMPUTE_PGM_RSRC2:USER_SGPR: 6
; COMPUTE_PGM_RSRC2:TRAP_HANDLER: 0
; COMPUTE_PGM_RSRC2:TGID_X_EN: 1
; COMPUTE_PGM_RSRC2:TGID_Y_EN: 0
; COMPUTE_PGM_RSRC2:TGID_Z_EN: 0
; COMPUTE_PGM_RSRC2:TIDIG_COMP_CNT: 0
	.section	.text._ZN7rocprim17ROCPRIM_400000_NS6detail17trampoline_kernelINS0_14default_configENS1_22reduce_config_selectorImEEZNS1_11reduce_implILb1ES3_N6thrust23THRUST_200600_302600_NS11hip_rocprim35transform_pair_of_input_iterators_tImNS8_6detail15normal_iteratorINS8_10device_ptrIiEEEESF_NS8_12not_equal_toIiEEEEPmmNS8_4plusImEEEE10hipError_tPvRmT1_T2_T3_mT4_P12ihipStream_tbEUlT_E1_NS1_11comp_targetILNS1_3genE9ELNS1_11target_archE1100ELNS1_3gpuE3ELNS1_3repE0EEENS1_30default_config_static_selectorELNS0_4arch9wavefront6targetE0EEEvSP_,"axG",@progbits,_ZN7rocprim17ROCPRIM_400000_NS6detail17trampoline_kernelINS0_14default_configENS1_22reduce_config_selectorImEEZNS1_11reduce_implILb1ES3_N6thrust23THRUST_200600_302600_NS11hip_rocprim35transform_pair_of_input_iterators_tImNS8_6detail15normal_iteratorINS8_10device_ptrIiEEEESF_NS8_12not_equal_toIiEEEEPmmNS8_4plusImEEEE10hipError_tPvRmT1_T2_T3_mT4_P12ihipStream_tbEUlT_E1_NS1_11comp_targetILNS1_3genE9ELNS1_11target_archE1100ELNS1_3gpuE3ELNS1_3repE0EEENS1_30default_config_static_selectorELNS0_4arch9wavefront6targetE0EEEvSP_,comdat
	.protected	_ZN7rocprim17ROCPRIM_400000_NS6detail17trampoline_kernelINS0_14default_configENS1_22reduce_config_selectorImEEZNS1_11reduce_implILb1ES3_N6thrust23THRUST_200600_302600_NS11hip_rocprim35transform_pair_of_input_iterators_tImNS8_6detail15normal_iteratorINS8_10device_ptrIiEEEESF_NS8_12not_equal_toIiEEEEPmmNS8_4plusImEEEE10hipError_tPvRmT1_T2_T3_mT4_P12ihipStream_tbEUlT_E1_NS1_11comp_targetILNS1_3genE9ELNS1_11target_archE1100ELNS1_3gpuE3ELNS1_3repE0EEENS1_30default_config_static_selectorELNS0_4arch9wavefront6targetE0EEEvSP_ ; -- Begin function _ZN7rocprim17ROCPRIM_400000_NS6detail17trampoline_kernelINS0_14default_configENS1_22reduce_config_selectorImEEZNS1_11reduce_implILb1ES3_N6thrust23THRUST_200600_302600_NS11hip_rocprim35transform_pair_of_input_iterators_tImNS8_6detail15normal_iteratorINS8_10device_ptrIiEEEESF_NS8_12not_equal_toIiEEEEPmmNS8_4plusImEEEE10hipError_tPvRmT1_T2_T3_mT4_P12ihipStream_tbEUlT_E1_NS1_11comp_targetILNS1_3genE9ELNS1_11target_archE1100ELNS1_3gpuE3ELNS1_3repE0EEENS1_30default_config_static_selectorELNS0_4arch9wavefront6targetE0EEEvSP_
	.globl	_ZN7rocprim17ROCPRIM_400000_NS6detail17trampoline_kernelINS0_14default_configENS1_22reduce_config_selectorImEEZNS1_11reduce_implILb1ES3_N6thrust23THRUST_200600_302600_NS11hip_rocprim35transform_pair_of_input_iterators_tImNS8_6detail15normal_iteratorINS8_10device_ptrIiEEEESF_NS8_12not_equal_toIiEEEEPmmNS8_4plusImEEEE10hipError_tPvRmT1_T2_T3_mT4_P12ihipStream_tbEUlT_E1_NS1_11comp_targetILNS1_3genE9ELNS1_11target_archE1100ELNS1_3gpuE3ELNS1_3repE0EEENS1_30default_config_static_selectorELNS0_4arch9wavefront6targetE0EEEvSP_
	.p2align	8
	.type	_ZN7rocprim17ROCPRIM_400000_NS6detail17trampoline_kernelINS0_14default_configENS1_22reduce_config_selectorImEEZNS1_11reduce_implILb1ES3_N6thrust23THRUST_200600_302600_NS11hip_rocprim35transform_pair_of_input_iterators_tImNS8_6detail15normal_iteratorINS8_10device_ptrIiEEEESF_NS8_12not_equal_toIiEEEEPmmNS8_4plusImEEEE10hipError_tPvRmT1_T2_T3_mT4_P12ihipStream_tbEUlT_E1_NS1_11comp_targetILNS1_3genE9ELNS1_11target_archE1100ELNS1_3gpuE3ELNS1_3repE0EEENS1_30default_config_static_selectorELNS0_4arch9wavefront6targetE0EEEvSP_,@function
_ZN7rocprim17ROCPRIM_400000_NS6detail17trampoline_kernelINS0_14default_configENS1_22reduce_config_selectorImEEZNS1_11reduce_implILb1ES3_N6thrust23THRUST_200600_302600_NS11hip_rocprim35transform_pair_of_input_iterators_tImNS8_6detail15normal_iteratorINS8_10device_ptrIiEEEESF_NS8_12not_equal_toIiEEEEPmmNS8_4plusImEEEE10hipError_tPvRmT1_T2_T3_mT4_P12ihipStream_tbEUlT_E1_NS1_11comp_targetILNS1_3genE9ELNS1_11target_archE1100ELNS1_3gpuE3ELNS1_3repE0EEENS1_30default_config_static_selectorELNS0_4arch9wavefront6targetE0EEEvSP_: ; @_ZN7rocprim17ROCPRIM_400000_NS6detail17trampoline_kernelINS0_14default_configENS1_22reduce_config_selectorImEEZNS1_11reduce_implILb1ES3_N6thrust23THRUST_200600_302600_NS11hip_rocprim35transform_pair_of_input_iterators_tImNS8_6detail15normal_iteratorINS8_10device_ptrIiEEEESF_NS8_12not_equal_toIiEEEEPmmNS8_4plusImEEEE10hipError_tPvRmT1_T2_T3_mT4_P12ihipStream_tbEUlT_E1_NS1_11comp_targetILNS1_3genE9ELNS1_11target_archE1100ELNS1_3gpuE3ELNS1_3repE0EEENS1_30default_config_static_selectorELNS0_4arch9wavefront6targetE0EEEvSP_
; %bb.0:
	.section	.rodata,"a",@progbits
	.p2align	6, 0x0
	.amdhsa_kernel _ZN7rocprim17ROCPRIM_400000_NS6detail17trampoline_kernelINS0_14default_configENS1_22reduce_config_selectorImEEZNS1_11reduce_implILb1ES3_N6thrust23THRUST_200600_302600_NS11hip_rocprim35transform_pair_of_input_iterators_tImNS8_6detail15normal_iteratorINS8_10device_ptrIiEEEESF_NS8_12not_equal_toIiEEEEPmmNS8_4plusImEEEE10hipError_tPvRmT1_T2_T3_mT4_P12ihipStream_tbEUlT_E1_NS1_11comp_targetILNS1_3genE9ELNS1_11target_archE1100ELNS1_3gpuE3ELNS1_3repE0EEENS1_30default_config_static_selectorELNS0_4arch9wavefront6targetE0EEEvSP_
		.amdhsa_group_segment_fixed_size 0
		.amdhsa_private_segment_fixed_size 0
		.amdhsa_kernarg_size 64
		.amdhsa_user_sgpr_count 6
		.amdhsa_user_sgpr_private_segment_buffer 1
		.amdhsa_user_sgpr_dispatch_ptr 0
		.amdhsa_user_sgpr_queue_ptr 0
		.amdhsa_user_sgpr_kernarg_segment_ptr 1
		.amdhsa_user_sgpr_dispatch_id 0
		.amdhsa_user_sgpr_flat_scratch_init 0
		.amdhsa_user_sgpr_private_segment_size 0
		.amdhsa_wavefront_size32 1
		.amdhsa_uses_dynamic_stack 0
		.amdhsa_system_sgpr_private_segment_wavefront_offset 0
		.amdhsa_system_sgpr_workgroup_id_x 1
		.amdhsa_system_sgpr_workgroup_id_y 0
		.amdhsa_system_sgpr_workgroup_id_z 0
		.amdhsa_system_sgpr_workgroup_info 0
		.amdhsa_system_vgpr_workitem_id 0
		.amdhsa_next_free_vgpr 1
		.amdhsa_next_free_sgpr 1
		.amdhsa_reserve_vcc 0
		.amdhsa_reserve_flat_scratch 0
		.amdhsa_float_round_mode_32 0
		.amdhsa_float_round_mode_16_64 0
		.amdhsa_float_denorm_mode_32 3
		.amdhsa_float_denorm_mode_16_64 3
		.amdhsa_dx10_clamp 1
		.amdhsa_ieee_mode 1
		.amdhsa_fp16_overflow 0
		.amdhsa_workgroup_processor_mode 1
		.amdhsa_memory_ordered 1
		.amdhsa_forward_progress 1
		.amdhsa_shared_vgpr_count 0
		.amdhsa_exception_fp_ieee_invalid_op 0
		.amdhsa_exception_fp_denorm_src 0
		.amdhsa_exception_fp_ieee_div_zero 0
		.amdhsa_exception_fp_ieee_overflow 0
		.amdhsa_exception_fp_ieee_underflow 0
		.amdhsa_exception_fp_ieee_inexact 0
		.amdhsa_exception_int_div_zero 0
	.end_amdhsa_kernel
	.section	.text._ZN7rocprim17ROCPRIM_400000_NS6detail17trampoline_kernelINS0_14default_configENS1_22reduce_config_selectorImEEZNS1_11reduce_implILb1ES3_N6thrust23THRUST_200600_302600_NS11hip_rocprim35transform_pair_of_input_iterators_tImNS8_6detail15normal_iteratorINS8_10device_ptrIiEEEESF_NS8_12not_equal_toIiEEEEPmmNS8_4plusImEEEE10hipError_tPvRmT1_T2_T3_mT4_P12ihipStream_tbEUlT_E1_NS1_11comp_targetILNS1_3genE9ELNS1_11target_archE1100ELNS1_3gpuE3ELNS1_3repE0EEENS1_30default_config_static_selectorELNS0_4arch9wavefront6targetE0EEEvSP_,"axG",@progbits,_ZN7rocprim17ROCPRIM_400000_NS6detail17trampoline_kernelINS0_14default_configENS1_22reduce_config_selectorImEEZNS1_11reduce_implILb1ES3_N6thrust23THRUST_200600_302600_NS11hip_rocprim35transform_pair_of_input_iterators_tImNS8_6detail15normal_iteratorINS8_10device_ptrIiEEEESF_NS8_12not_equal_toIiEEEEPmmNS8_4plusImEEEE10hipError_tPvRmT1_T2_T3_mT4_P12ihipStream_tbEUlT_E1_NS1_11comp_targetILNS1_3genE9ELNS1_11target_archE1100ELNS1_3gpuE3ELNS1_3repE0EEENS1_30default_config_static_selectorELNS0_4arch9wavefront6targetE0EEEvSP_,comdat
.Lfunc_end54:
	.size	_ZN7rocprim17ROCPRIM_400000_NS6detail17trampoline_kernelINS0_14default_configENS1_22reduce_config_selectorImEEZNS1_11reduce_implILb1ES3_N6thrust23THRUST_200600_302600_NS11hip_rocprim35transform_pair_of_input_iterators_tImNS8_6detail15normal_iteratorINS8_10device_ptrIiEEEESF_NS8_12not_equal_toIiEEEEPmmNS8_4plusImEEEE10hipError_tPvRmT1_T2_T3_mT4_P12ihipStream_tbEUlT_E1_NS1_11comp_targetILNS1_3genE9ELNS1_11target_archE1100ELNS1_3gpuE3ELNS1_3repE0EEENS1_30default_config_static_selectorELNS0_4arch9wavefront6targetE0EEEvSP_, .Lfunc_end54-_ZN7rocprim17ROCPRIM_400000_NS6detail17trampoline_kernelINS0_14default_configENS1_22reduce_config_selectorImEEZNS1_11reduce_implILb1ES3_N6thrust23THRUST_200600_302600_NS11hip_rocprim35transform_pair_of_input_iterators_tImNS8_6detail15normal_iteratorINS8_10device_ptrIiEEEESF_NS8_12not_equal_toIiEEEEPmmNS8_4plusImEEEE10hipError_tPvRmT1_T2_T3_mT4_P12ihipStream_tbEUlT_E1_NS1_11comp_targetILNS1_3genE9ELNS1_11target_archE1100ELNS1_3gpuE3ELNS1_3repE0EEENS1_30default_config_static_selectorELNS0_4arch9wavefront6targetE0EEEvSP_
                                        ; -- End function
	.set _ZN7rocprim17ROCPRIM_400000_NS6detail17trampoline_kernelINS0_14default_configENS1_22reduce_config_selectorImEEZNS1_11reduce_implILb1ES3_N6thrust23THRUST_200600_302600_NS11hip_rocprim35transform_pair_of_input_iterators_tImNS8_6detail15normal_iteratorINS8_10device_ptrIiEEEESF_NS8_12not_equal_toIiEEEEPmmNS8_4plusImEEEE10hipError_tPvRmT1_T2_T3_mT4_P12ihipStream_tbEUlT_E1_NS1_11comp_targetILNS1_3genE9ELNS1_11target_archE1100ELNS1_3gpuE3ELNS1_3repE0EEENS1_30default_config_static_selectorELNS0_4arch9wavefront6targetE0EEEvSP_.num_vgpr, 0
	.set _ZN7rocprim17ROCPRIM_400000_NS6detail17trampoline_kernelINS0_14default_configENS1_22reduce_config_selectorImEEZNS1_11reduce_implILb1ES3_N6thrust23THRUST_200600_302600_NS11hip_rocprim35transform_pair_of_input_iterators_tImNS8_6detail15normal_iteratorINS8_10device_ptrIiEEEESF_NS8_12not_equal_toIiEEEEPmmNS8_4plusImEEEE10hipError_tPvRmT1_T2_T3_mT4_P12ihipStream_tbEUlT_E1_NS1_11comp_targetILNS1_3genE9ELNS1_11target_archE1100ELNS1_3gpuE3ELNS1_3repE0EEENS1_30default_config_static_selectorELNS0_4arch9wavefront6targetE0EEEvSP_.num_agpr, 0
	.set _ZN7rocprim17ROCPRIM_400000_NS6detail17trampoline_kernelINS0_14default_configENS1_22reduce_config_selectorImEEZNS1_11reduce_implILb1ES3_N6thrust23THRUST_200600_302600_NS11hip_rocprim35transform_pair_of_input_iterators_tImNS8_6detail15normal_iteratorINS8_10device_ptrIiEEEESF_NS8_12not_equal_toIiEEEEPmmNS8_4plusImEEEE10hipError_tPvRmT1_T2_T3_mT4_P12ihipStream_tbEUlT_E1_NS1_11comp_targetILNS1_3genE9ELNS1_11target_archE1100ELNS1_3gpuE3ELNS1_3repE0EEENS1_30default_config_static_selectorELNS0_4arch9wavefront6targetE0EEEvSP_.numbered_sgpr, 0
	.set _ZN7rocprim17ROCPRIM_400000_NS6detail17trampoline_kernelINS0_14default_configENS1_22reduce_config_selectorImEEZNS1_11reduce_implILb1ES3_N6thrust23THRUST_200600_302600_NS11hip_rocprim35transform_pair_of_input_iterators_tImNS8_6detail15normal_iteratorINS8_10device_ptrIiEEEESF_NS8_12not_equal_toIiEEEEPmmNS8_4plusImEEEE10hipError_tPvRmT1_T2_T3_mT4_P12ihipStream_tbEUlT_E1_NS1_11comp_targetILNS1_3genE9ELNS1_11target_archE1100ELNS1_3gpuE3ELNS1_3repE0EEENS1_30default_config_static_selectorELNS0_4arch9wavefront6targetE0EEEvSP_.num_named_barrier, 0
	.set _ZN7rocprim17ROCPRIM_400000_NS6detail17trampoline_kernelINS0_14default_configENS1_22reduce_config_selectorImEEZNS1_11reduce_implILb1ES3_N6thrust23THRUST_200600_302600_NS11hip_rocprim35transform_pair_of_input_iterators_tImNS8_6detail15normal_iteratorINS8_10device_ptrIiEEEESF_NS8_12not_equal_toIiEEEEPmmNS8_4plusImEEEE10hipError_tPvRmT1_T2_T3_mT4_P12ihipStream_tbEUlT_E1_NS1_11comp_targetILNS1_3genE9ELNS1_11target_archE1100ELNS1_3gpuE3ELNS1_3repE0EEENS1_30default_config_static_selectorELNS0_4arch9wavefront6targetE0EEEvSP_.private_seg_size, 0
	.set _ZN7rocprim17ROCPRIM_400000_NS6detail17trampoline_kernelINS0_14default_configENS1_22reduce_config_selectorImEEZNS1_11reduce_implILb1ES3_N6thrust23THRUST_200600_302600_NS11hip_rocprim35transform_pair_of_input_iterators_tImNS8_6detail15normal_iteratorINS8_10device_ptrIiEEEESF_NS8_12not_equal_toIiEEEEPmmNS8_4plusImEEEE10hipError_tPvRmT1_T2_T3_mT4_P12ihipStream_tbEUlT_E1_NS1_11comp_targetILNS1_3genE9ELNS1_11target_archE1100ELNS1_3gpuE3ELNS1_3repE0EEENS1_30default_config_static_selectorELNS0_4arch9wavefront6targetE0EEEvSP_.uses_vcc, 0
	.set _ZN7rocprim17ROCPRIM_400000_NS6detail17trampoline_kernelINS0_14default_configENS1_22reduce_config_selectorImEEZNS1_11reduce_implILb1ES3_N6thrust23THRUST_200600_302600_NS11hip_rocprim35transform_pair_of_input_iterators_tImNS8_6detail15normal_iteratorINS8_10device_ptrIiEEEESF_NS8_12not_equal_toIiEEEEPmmNS8_4plusImEEEE10hipError_tPvRmT1_T2_T3_mT4_P12ihipStream_tbEUlT_E1_NS1_11comp_targetILNS1_3genE9ELNS1_11target_archE1100ELNS1_3gpuE3ELNS1_3repE0EEENS1_30default_config_static_selectorELNS0_4arch9wavefront6targetE0EEEvSP_.uses_flat_scratch, 0
	.set _ZN7rocprim17ROCPRIM_400000_NS6detail17trampoline_kernelINS0_14default_configENS1_22reduce_config_selectorImEEZNS1_11reduce_implILb1ES3_N6thrust23THRUST_200600_302600_NS11hip_rocprim35transform_pair_of_input_iterators_tImNS8_6detail15normal_iteratorINS8_10device_ptrIiEEEESF_NS8_12not_equal_toIiEEEEPmmNS8_4plusImEEEE10hipError_tPvRmT1_T2_T3_mT4_P12ihipStream_tbEUlT_E1_NS1_11comp_targetILNS1_3genE9ELNS1_11target_archE1100ELNS1_3gpuE3ELNS1_3repE0EEENS1_30default_config_static_selectorELNS0_4arch9wavefront6targetE0EEEvSP_.has_dyn_sized_stack, 0
	.set _ZN7rocprim17ROCPRIM_400000_NS6detail17trampoline_kernelINS0_14default_configENS1_22reduce_config_selectorImEEZNS1_11reduce_implILb1ES3_N6thrust23THRUST_200600_302600_NS11hip_rocprim35transform_pair_of_input_iterators_tImNS8_6detail15normal_iteratorINS8_10device_ptrIiEEEESF_NS8_12not_equal_toIiEEEEPmmNS8_4plusImEEEE10hipError_tPvRmT1_T2_T3_mT4_P12ihipStream_tbEUlT_E1_NS1_11comp_targetILNS1_3genE9ELNS1_11target_archE1100ELNS1_3gpuE3ELNS1_3repE0EEENS1_30default_config_static_selectorELNS0_4arch9wavefront6targetE0EEEvSP_.has_recursion, 0
	.set _ZN7rocprim17ROCPRIM_400000_NS6detail17trampoline_kernelINS0_14default_configENS1_22reduce_config_selectorImEEZNS1_11reduce_implILb1ES3_N6thrust23THRUST_200600_302600_NS11hip_rocprim35transform_pair_of_input_iterators_tImNS8_6detail15normal_iteratorINS8_10device_ptrIiEEEESF_NS8_12not_equal_toIiEEEEPmmNS8_4plusImEEEE10hipError_tPvRmT1_T2_T3_mT4_P12ihipStream_tbEUlT_E1_NS1_11comp_targetILNS1_3genE9ELNS1_11target_archE1100ELNS1_3gpuE3ELNS1_3repE0EEENS1_30default_config_static_selectorELNS0_4arch9wavefront6targetE0EEEvSP_.has_indirect_call, 0
	.section	.AMDGPU.csdata,"",@progbits
; Kernel info:
; codeLenInByte = 0
; TotalNumSgprs: 0
; NumVgprs: 0
; ScratchSize: 0
; MemoryBound: 0
; FloatMode: 240
; IeeeMode: 1
; LDSByteSize: 0 bytes/workgroup (compile time only)
; SGPRBlocks: 0
; VGPRBlocks: 0
; NumSGPRsForWavesPerEU: 1
; NumVGPRsForWavesPerEU: 1
; Occupancy: 16
; WaveLimiterHint : 0
; COMPUTE_PGM_RSRC2:SCRATCH_EN: 0
; COMPUTE_PGM_RSRC2:USER_SGPR: 6
; COMPUTE_PGM_RSRC2:TRAP_HANDLER: 0
; COMPUTE_PGM_RSRC2:TGID_X_EN: 1
; COMPUTE_PGM_RSRC2:TGID_Y_EN: 0
; COMPUTE_PGM_RSRC2:TGID_Z_EN: 0
; COMPUTE_PGM_RSRC2:TIDIG_COMP_CNT: 0
	.section	.text._ZN7rocprim17ROCPRIM_400000_NS6detail17trampoline_kernelINS0_14default_configENS1_22reduce_config_selectorImEEZNS1_11reduce_implILb1ES3_N6thrust23THRUST_200600_302600_NS11hip_rocprim35transform_pair_of_input_iterators_tImNS8_6detail15normal_iteratorINS8_10device_ptrIiEEEESF_NS8_12not_equal_toIiEEEEPmmNS8_4plusImEEEE10hipError_tPvRmT1_T2_T3_mT4_P12ihipStream_tbEUlT_E1_NS1_11comp_targetILNS1_3genE8ELNS1_11target_archE1030ELNS1_3gpuE2ELNS1_3repE0EEENS1_30default_config_static_selectorELNS0_4arch9wavefront6targetE0EEEvSP_,"axG",@progbits,_ZN7rocprim17ROCPRIM_400000_NS6detail17trampoline_kernelINS0_14default_configENS1_22reduce_config_selectorImEEZNS1_11reduce_implILb1ES3_N6thrust23THRUST_200600_302600_NS11hip_rocprim35transform_pair_of_input_iterators_tImNS8_6detail15normal_iteratorINS8_10device_ptrIiEEEESF_NS8_12not_equal_toIiEEEEPmmNS8_4plusImEEEE10hipError_tPvRmT1_T2_T3_mT4_P12ihipStream_tbEUlT_E1_NS1_11comp_targetILNS1_3genE8ELNS1_11target_archE1030ELNS1_3gpuE2ELNS1_3repE0EEENS1_30default_config_static_selectorELNS0_4arch9wavefront6targetE0EEEvSP_,comdat
	.protected	_ZN7rocprim17ROCPRIM_400000_NS6detail17trampoline_kernelINS0_14default_configENS1_22reduce_config_selectorImEEZNS1_11reduce_implILb1ES3_N6thrust23THRUST_200600_302600_NS11hip_rocprim35transform_pair_of_input_iterators_tImNS8_6detail15normal_iteratorINS8_10device_ptrIiEEEESF_NS8_12not_equal_toIiEEEEPmmNS8_4plusImEEEE10hipError_tPvRmT1_T2_T3_mT4_P12ihipStream_tbEUlT_E1_NS1_11comp_targetILNS1_3genE8ELNS1_11target_archE1030ELNS1_3gpuE2ELNS1_3repE0EEENS1_30default_config_static_selectorELNS0_4arch9wavefront6targetE0EEEvSP_ ; -- Begin function _ZN7rocprim17ROCPRIM_400000_NS6detail17trampoline_kernelINS0_14default_configENS1_22reduce_config_selectorImEEZNS1_11reduce_implILb1ES3_N6thrust23THRUST_200600_302600_NS11hip_rocprim35transform_pair_of_input_iterators_tImNS8_6detail15normal_iteratorINS8_10device_ptrIiEEEESF_NS8_12not_equal_toIiEEEEPmmNS8_4plusImEEEE10hipError_tPvRmT1_T2_T3_mT4_P12ihipStream_tbEUlT_E1_NS1_11comp_targetILNS1_3genE8ELNS1_11target_archE1030ELNS1_3gpuE2ELNS1_3repE0EEENS1_30default_config_static_selectorELNS0_4arch9wavefront6targetE0EEEvSP_
	.globl	_ZN7rocprim17ROCPRIM_400000_NS6detail17trampoline_kernelINS0_14default_configENS1_22reduce_config_selectorImEEZNS1_11reduce_implILb1ES3_N6thrust23THRUST_200600_302600_NS11hip_rocprim35transform_pair_of_input_iterators_tImNS8_6detail15normal_iteratorINS8_10device_ptrIiEEEESF_NS8_12not_equal_toIiEEEEPmmNS8_4plusImEEEE10hipError_tPvRmT1_T2_T3_mT4_P12ihipStream_tbEUlT_E1_NS1_11comp_targetILNS1_3genE8ELNS1_11target_archE1030ELNS1_3gpuE2ELNS1_3repE0EEENS1_30default_config_static_selectorELNS0_4arch9wavefront6targetE0EEEvSP_
	.p2align	8
	.type	_ZN7rocprim17ROCPRIM_400000_NS6detail17trampoline_kernelINS0_14default_configENS1_22reduce_config_selectorImEEZNS1_11reduce_implILb1ES3_N6thrust23THRUST_200600_302600_NS11hip_rocprim35transform_pair_of_input_iterators_tImNS8_6detail15normal_iteratorINS8_10device_ptrIiEEEESF_NS8_12not_equal_toIiEEEEPmmNS8_4plusImEEEE10hipError_tPvRmT1_T2_T3_mT4_P12ihipStream_tbEUlT_E1_NS1_11comp_targetILNS1_3genE8ELNS1_11target_archE1030ELNS1_3gpuE2ELNS1_3repE0EEENS1_30default_config_static_selectorELNS0_4arch9wavefront6targetE0EEEvSP_,@function
_ZN7rocprim17ROCPRIM_400000_NS6detail17trampoline_kernelINS0_14default_configENS1_22reduce_config_selectorImEEZNS1_11reduce_implILb1ES3_N6thrust23THRUST_200600_302600_NS11hip_rocprim35transform_pair_of_input_iterators_tImNS8_6detail15normal_iteratorINS8_10device_ptrIiEEEESF_NS8_12not_equal_toIiEEEEPmmNS8_4plusImEEEE10hipError_tPvRmT1_T2_T3_mT4_P12ihipStream_tbEUlT_E1_NS1_11comp_targetILNS1_3genE8ELNS1_11target_archE1030ELNS1_3gpuE2ELNS1_3repE0EEENS1_30default_config_static_selectorELNS0_4arch9wavefront6targetE0EEEvSP_: ; @_ZN7rocprim17ROCPRIM_400000_NS6detail17trampoline_kernelINS0_14default_configENS1_22reduce_config_selectorImEEZNS1_11reduce_implILb1ES3_N6thrust23THRUST_200600_302600_NS11hip_rocprim35transform_pair_of_input_iterators_tImNS8_6detail15normal_iteratorINS8_10device_ptrIiEEEESF_NS8_12not_equal_toIiEEEEPmmNS8_4plusImEEEE10hipError_tPvRmT1_T2_T3_mT4_P12ihipStream_tbEUlT_E1_NS1_11comp_targetILNS1_3genE8ELNS1_11target_archE1030ELNS1_3gpuE2ELNS1_3repE0EEENS1_30default_config_static_selectorELNS0_4arch9wavefront6targetE0EEEvSP_
; %bb.0:
	s_clause 0x2
	s_load_dword s30, s[4:5], 0x4
	s_load_dwordx4 s[24:27], s[4:5], 0x8
	s_load_dwordx4 s[20:23], s[4:5], 0x20
	s_waitcnt lgkmcnt(0)
	s_cmp_lt_i32 s30, 4
	s_cbranch_scc1 .LBB55_10
; %bb.1:
	s_cmp_gt_i32 s30, 7
	s_cbranch_scc0 .LBB55_11
; %bb.2:
	s_cmp_gt_i32 s30, 15
	s_cbranch_scc0 .LBB55_12
; %bb.3:
	s_mov_b32 s31, 0
	s_cmp_eq_u32 s30, 16
	s_mov_b32 s0, 0
                                        ; implicit-def: $vgpr1_vgpr2
                                        ; implicit-def: $vgpr3_vgpr4
	s_cbranch_scc0 .LBB55_13
; %bb.4:
	s_mov_b32 s7, 0
	s_lshl_b32 s2, s6, 12
	s_mov_b32 s3, s7
	s_lshr_b64 s[8:9], s[20:21], 12
	s_lshl_b64 s[0:1], s[2:3], 2
	s_add_u32 s18, s24, s0
	s_addc_u32 s19, s25, s1
	s_add_u32 s28, s26, s0
	s_addc_u32 s29, s27, s1
	s_cmp_lg_u64 s[8:9], s[6:7]
	s_cbranch_scc0 .LBB55_21
; %bb.5:
	v_lshlrev_b32_e32 v1, 2, v0
	s_clause 0x3
	global_load_dword v15, v1, s[18:19]
	global_load_dword v16, v1, s[28:29]
	global_load_dword v17, v1, s[28:29] offset:1024
	global_load_dword v18, v1, s[18:19] offset:1024
	v_add_co_u32 v11, s0, s18, v1
	v_add_co_ci_u32_e64 v12, null, s19, 0, s0
	v_add_co_u32 v13, s0, s28, v1
	v_add_co_u32 v1, vcc_lo, 0x800, v11
	v_add_co_ci_u32_e64 v14, null, s29, 0, s0
	v_add_co_ci_u32_e64 v2, null, 0, v12, vcc_lo
	v_add_co_u32 v3, vcc_lo, v11, 0x1000
	v_add_co_ci_u32_e64 v4, null, 0, v12, vcc_lo
	v_add_co_u32 v5, vcc_lo, 0x800, v13
	v_add_co_ci_u32_e64 v6, null, 0, v14, vcc_lo
	global_load_dword v19, v[1:2], off offset:1024
	global_load_dword v20, v[5:6], off offset:1024
	v_add_co_u32 v7, vcc_lo, v13, 0x1000
	v_add_co_ci_u32_e64 v8, null, 0, v14, vcc_lo
	v_add_co_u32 v1, vcc_lo, 0x1000, v11
	v_add_co_ci_u32_e64 v2, null, 0, v12, vcc_lo
	;; [unrolled: 2-line block ×3, first 2 shown]
	s_clause 0x1
	global_load_dword v21, v[3:4], off offset:-2048
	global_load_dword v22, v[3:4], off
	s_clause 0x1
	global_load_dword v23, v[7:8], off offset:-2048
	global_load_dword v24, v[7:8], off
	global_load_dword v25, v[1:2], off offset:1024
	global_load_dword v26, v[5:6], off offset:1024
	v_add_co_u32 v1, vcc_lo, 0x1800, v11
	v_add_co_ci_u32_e64 v2, null, 0, v12, vcc_lo
	v_add_co_u32 v3, vcc_lo, v11, 0x2000
	v_add_co_ci_u32_e64 v4, null, 0, v12, vcc_lo
	;; [unrolled: 2-line block ×4, first 2 shown]
	global_load_dword v27, v[1:2], off offset:1024
	global_load_dword v28, v[5:6], off offset:1024
	v_add_co_u32 v1, vcc_lo, 0x2000, v11
	v_add_co_ci_u32_e64 v2, null, 0, v12, vcc_lo
	s_clause 0x1
	global_load_dword v29, v[3:4], off offset:-2048
	global_load_dword v30, v[3:4], off
	s_clause 0x1
	global_load_dword v31, v[7:8], off offset:-2048
	global_load_dword v32, v[7:8], off
	global_load_dword v33, v[1:2], off offset:1024
	v_add_co_u32 v3, vcc_lo, 0x2000, v13
	v_add_co_ci_u32_e64 v4, null, 0, v14, vcc_lo
	v_add_co_u32 v1, vcc_lo, 0x2800, v11
	v_add_co_ci_u32_e64 v2, null, 0, v12, vcc_lo
	;; [unrolled: 2-line block ×5, first 2 shown]
	global_load_dword v34, v[3:4], off offset:1024
	global_load_dword v35, v[5:6], off offset:-2048
	global_load_dword v36, v[7:8], off offset:-2048
	global_load_dword v37, v[1:2], off offset:1024
	global_load_dword v9, v[9:10], off offset:1024
	v_add_co_u32 v1, vcc_lo, 0x3000, v11
	v_add_co_ci_u32_e64 v2, null, 0, v12, vcc_lo
	v_add_co_u32 v3, vcc_lo, 0x3000, v13
	v_add_co_ci_u32_e64 v4, null, 0, v14, vcc_lo
	global_load_dword v5, v[5:6], off
	global_load_dword v6, v[7:8], off
	global_load_dword v7, v[1:2], off offset:1024
	global_load_dword v8, v[3:4], off offset:1024
	v_add_co_u32 v1, vcc_lo, 0x3800, v13
	v_add_co_ci_u32_e64 v2, null, 0, v14, vcc_lo
	v_add_co_u32 v3, vcc_lo, 0x3800, v11
	v_add_co_ci_u32_e64 v4, null, 0, v12, vcc_lo
	global_load_dword v10, v[1:2], off
	s_clause 0x1
	global_load_dword v11, v[3:4], off
	global_load_dword v3, v[3:4], off offset:1024
	global_load_dword v1, v[1:2], off offset:1024
	s_waitcnt vmcnt(28)
	v_cmp_ne_u32_e32 vcc_lo, v18, v17
	v_cndmask_b32_e64 v2, 0, 1, vcc_lo
	v_cmp_ne_u32_e32 vcc_lo, v15, v16
	v_cndmask_b32_e64 v4, 0, 1, vcc_lo
	s_waitcnt vmcnt(26)
	v_cmp_ne_u32_e32 vcc_lo, v19, v20
	v_cndmask_b32_e64 v12, 0, 1, vcc_lo
	s_waitcnt vmcnt(23)
	v_cmp_ne_u32_e32 vcc_lo, v21, v23
	v_add_co_ci_u32_e64 v2, null, v2, v4, vcc_lo
	s_waitcnt vmcnt(22)
	v_cmp_ne_u32_e32 vcc_lo, v22, v24
	v_add_co_u32 v2, s0, v2, v12
	v_cndmask_b32_e64 v4, 0, 1, vcc_lo
	s_waitcnt vmcnt(20)
	v_cmp_ne_u32_e32 vcc_lo, v25, v26
	v_add_co_ci_u32_e64 v13, null, 0, 0, s0
	v_cndmask_b32_e64 v12, 0, 1, vcc_lo
	v_add_co_u32 v2, vcc_lo, v2, v4
	v_add_co_ci_u32_e64 v13, null, 0, v13, vcc_lo
	s_waitcnt vmcnt(15)
	v_cmp_ne_u32_e64 s0, v29, v31
	v_add_co_u32 v2, vcc_lo, v2, v12
	v_add_co_ci_u32_e64 v13, null, 0, v13, vcc_lo
	v_cndmask_b32_e64 v4, 0, 1, s0
	v_cmp_ne_u32_e64 s0, v27, v28
	v_add_co_u32 v2, vcc_lo, v2, v4
	v_cndmask_b32_e64 v12, 0, 1, s0
	s_waitcnt vmcnt(14)
	v_cmp_ne_u32_e64 s0, v30, v32
	v_add_co_ci_u32_e64 v13, null, 0, v13, vcc_lo
	v_add_co_u32 v2, vcc_lo, v2, v12
	v_cndmask_b32_e64 v4, 0, 1, s0
	s_waitcnt vmcnt(12)
	v_cmp_ne_u32_e64 s0, v33, v34
	v_add_co_ci_u32_e64 v13, null, 0, v13, vcc_lo
	;; [unrolled: 5-line block ×8, first 2 shown]
	v_add_co_u32 v2, vcc_lo, v2, v4
	v_cndmask_b32_e64 v1, 0, 1, s0
	v_add_co_ci_u32_e64 v3, null, 0, v3, vcc_lo
	v_mov_b32_e32 v4, 0
	s_mov_b32 s0, exec_lo
	v_add_co_u32 v1, vcc_lo, v2, v1
	v_add_co_ci_u32_e64 v2, null, 0, v3, vcc_lo
	v_mov_b32_dpp v3, v1 quad_perm:[1,0,3,2] row_mask:0xf bank_mask:0xf
	v_add_co_u32 v1, vcc_lo, v1, v3
	v_mov_b32_dpp v3, v4 quad_perm:[1,0,3,2] row_mask:0xf bank_mask:0xf
	v_add_co_ci_u32_e64 v2, null, 0, v2, vcc_lo
	v_mov_b32_dpp v5, v1 quad_perm:[2,3,0,1] row_mask:0xf bank_mask:0xf
	v_add_co_u32 v1, vcc_lo, 0, v1
	v_add_co_ci_u32_e64 v2, null, v3, v2, vcc_lo
	v_add_co_u32 v1, vcc_lo, v1, v5
	v_mov_b32_dpp v3, v2 quad_perm:[2,3,0,1] row_mask:0xf bank_mask:0xf
	v_add_co_ci_u32_e64 v2, null, 0, v2, vcc_lo
	v_mov_b32_dpp v5, v1 row_ror:4 row_mask:0xf bank_mask:0xf
	v_add_co_u32 v1, vcc_lo, v1, 0
	v_add_co_ci_u32_e64 v2, null, v2, v3, vcc_lo
	v_add_co_u32 v1, vcc_lo, v1, v5
	v_mov_b32_dpp v3, v2 row_ror:4 row_mask:0xf bank_mask:0xf
	v_add_co_ci_u32_e64 v2, null, 0, v2, vcc_lo
	v_mov_b32_dpp v5, v1 row_ror:8 row_mask:0xf bank_mask:0xf
	v_add_co_u32 v1, vcc_lo, v1, 0
	v_add_co_ci_u32_e64 v2, null, v2, v3, vcc_lo
	v_add_co_u32 v1, vcc_lo, v1, v5
	v_mov_b32_dpp v3, v2 row_ror:8 row_mask:0xf bank_mask:0xf
	v_add_co_ci_u32_e64 v2, null, 0, v2, vcc_lo
	ds_swizzle_b32 v5, v1 offset:swizzle(BROADCAST,32,15)
	v_add_co_u32 v1, vcc_lo, v1, 0
	v_add_co_ci_u32_e64 v2, null, v2, v3, vcc_lo
	ds_swizzle_b32 v3, v2 offset:swizzle(BROADCAST,32,15)
	s_waitcnt lgkmcnt(1)
	v_add_co_u32 v1, vcc_lo, v1, v5
	v_add_co_ci_u32_e64 v2, null, 0, v2, vcc_lo
	ds_bpermute_b32 v1, v4, v1 offset:124
	s_waitcnt lgkmcnt(1)
	v_add_nc_u32_e32 v2, v3, v2
	v_mbcnt_lo_u32_b32 v3, -1, 0
	ds_bpermute_b32 v2, v4, v2 offset:124
	v_cmpx_eq_u32_e32 0, v3
	s_cbranch_execz .LBB55_7
; %bb.6:
	v_lshrrev_b32_e32 v4, 2, v0
	v_and_b32_e32 v4, 56, v4
	s_waitcnt lgkmcnt(0)
	ds_write_b64 v4, v[1:2]
.LBB55_7:
	s_or_b32 exec_lo, exec_lo, s0
	s_mov_b32 s0, exec_lo
	s_waitcnt lgkmcnt(0)
	s_barrier
	buffer_gl0_inv
	v_cmpx_gt_u32_e32 32, v0
	s_cbranch_execz .LBB55_9
; %bb.8:
	v_and_b32_e32 v4, 7, v3
	v_lshlrev_b32_e32 v1, 3, v4
	v_cmp_ne_u32_e32 vcc_lo, 7, v4
	ds_read_b64 v[1:2], v1
	v_add_co_ci_u32_e64 v5, null, 0, v3, vcc_lo
	v_cmp_gt_u32_e32 vcc_lo, 6, v4
	v_lshlrev_b32_e32 v5, 2, v5
	v_cndmask_b32_e64 v4, 0, 2, vcc_lo
	v_add_lshl_u32 v4, v4, v3, 2
	v_lshlrev_b32_e32 v3, 2, v3
	v_or_b32_e32 v3, 16, v3
	s_waitcnt lgkmcnt(0)
	ds_bpermute_b32 v6, v5, v1
	ds_bpermute_b32 v5, v5, v2
	s_waitcnt lgkmcnt(1)
	v_add_co_u32 v1, vcc_lo, v1, v6
	v_add_co_ci_u32_e64 v2, null, 0, v2, vcc_lo
	ds_bpermute_b32 v6, v4, v1
	v_add_co_u32 v1, vcc_lo, 0, v1
	s_waitcnt lgkmcnt(1)
	v_add_co_ci_u32_e64 v2, null, v5, v2, vcc_lo
	ds_bpermute_b32 v4, v4, v2
	s_waitcnt lgkmcnt(1)
	v_add_co_u32 v1, vcc_lo, v1, v6
	v_add_co_ci_u32_e64 v2, null, 0, v2, vcc_lo
	ds_bpermute_b32 v5, v3, v1
	v_add_co_u32 v1, vcc_lo, v1, 0
	s_waitcnt lgkmcnt(1)
	v_add_co_ci_u32_e64 v2, null, v2, v4, vcc_lo
	ds_bpermute_b32 v3, v3, v2
	s_waitcnt lgkmcnt(1)
	v_add_co_u32 v1, vcc_lo, v1, v5
	v_add_co_ci_u32_e64 v2, null, 0, v2, vcc_lo
	v_add_co_u32 v1, vcc_lo, v1, 0
	s_waitcnt lgkmcnt(0)
	v_add_co_ci_u32_e64 v2, null, v2, v3, vcc_lo
.LBB55_9:
	s_or_b32 exec_lo, exec_lo, s0
	s_mov_b32 s0, 0
	s_branch .LBB55_22
.LBB55_10:
	s_mov_b32 s0, 0
                                        ; implicit-def: $vgpr1_vgpr2
                                        ; implicit-def: $vgpr3_vgpr4
	s_cbranch_execnz .LBB55_157
	s_branch .LBB55_226
.LBB55_11:
	s_mov_b32 s0, 0
                                        ; implicit-def: $vgpr1_vgpr2
                                        ; implicit-def: $vgpr3_vgpr4
	s_cbranch_execnz .LBB55_118
	s_branch .LBB55_156
.LBB55_12:
	s_mov_b32 s31, -1
	s_mov_b32 s0, 0
                                        ; implicit-def: $vgpr1_vgpr2
                                        ; implicit-def: $vgpr3_vgpr4
.LBB55_13:
	s_and_b32 vcc_lo, exec_lo, s31
	s_cbranch_vccz .LBB55_117
.LBB55_14:
	s_cmp_eq_u32 s30, 8
                                        ; implicit-def: $vgpr1_vgpr2
                                        ; implicit-def: $vgpr3_vgpr4
	s_cbranch_scc0 .LBB55_117
; %bb.15:
	s_mov_b32 s7, 0
	s_lshl_b32 s2, s6, 11
	s_mov_b32 s3, s7
	s_lshr_b64 s[8:9], s[20:21], 11
	s_lshl_b64 s[0:1], s[2:3], 2
	s_add_u32 s10, s24, s0
	s_addc_u32 s11, s25, s1
	s_add_u32 s12, s26, s0
	s_addc_u32 s13, s27, s1
	s_cmp_lg_u64 s[8:9], s[6:7]
	s_cbranch_scc0 .LBB55_77
; %bb.16:
	v_lshlrev_b32_e32 v1, 2, v0
	s_clause 0x3
	global_load_dword v13, v1, s[10:11]
	global_load_dword v14, v1, s[12:13]
	global_load_dword v15, v1, s[12:13] offset:1024
	global_load_dword v16, v1, s[10:11] offset:1024
	v_add_co_u32 v9, s0, s10, v1
	v_add_co_ci_u32_e64 v10, null, s11, 0, s0
	v_add_co_u32 v11, s0, s12, v1
	v_add_co_u32 v1, vcc_lo, 0x800, v9
	v_add_co_ci_u32_e64 v12, null, s13, 0, s0
	v_add_co_ci_u32_e64 v2, null, 0, v10, vcc_lo
	v_add_co_u32 v3, vcc_lo, v9, 0x1000
	v_add_co_ci_u32_e64 v4, null, 0, v10, vcc_lo
	v_add_co_u32 v5, vcc_lo, 0x800, v11
	v_add_co_ci_u32_e64 v6, null, 0, v12, vcc_lo
	global_load_dword v17, v[1:2], off offset:1024
	global_load_dword v18, v[5:6], off offset:1024
	v_add_co_u32 v7, vcc_lo, v11, 0x1000
	v_add_co_ci_u32_e64 v8, null, 0, v12, vcc_lo
	v_add_co_u32 v1, vcc_lo, 0x1000, v9
	v_add_co_ci_u32_e64 v2, null, 0, v10, vcc_lo
	v_add_co_u32 v5, vcc_lo, 0x1000, v11
	v_add_co_ci_u32_e64 v6, null, 0, v12, vcc_lo
	s_clause 0x1
	global_load_dword v19, v[3:4], off offset:-2048
	global_load_dword v20, v[3:4], off
	s_clause 0x1
	global_load_dword v21, v[7:8], off offset:-2048
	global_load_dword v7, v[7:8], off
	global_load_dword v8, v[1:2], off offset:1024
	global_load_dword v5, v[5:6], off offset:1024
	v_add_co_u32 v1, vcc_lo, 0x1800, v11
	v_add_co_ci_u32_e64 v2, null, 0, v12, vcc_lo
	v_add_co_u32 v3, vcc_lo, 0x1800, v9
	v_add_co_ci_u32_e64 v4, null, 0, v10, vcc_lo
	global_load_dword v6, v[1:2], off
	s_clause 0x1
	global_load_dword v9, v[3:4], off
	global_load_dword v3, v[3:4], off offset:1024
	global_load_dword v1, v[1:2], off offset:1024
	s_waitcnt vmcnt(12)
	v_cmp_ne_u32_e32 vcc_lo, v16, v15
	v_cndmask_b32_e64 v2, 0, 1, vcc_lo
	v_cmp_ne_u32_e32 vcc_lo, v13, v14
	v_cndmask_b32_e64 v4, 0, 1, vcc_lo
	s_waitcnt vmcnt(10)
	v_cmp_ne_u32_e32 vcc_lo, v17, v18
	v_cndmask_b32_e64 v10, 0, 1, vcc_lo
	s_waitcnt vmcnt(7)
	v_cmp_ne_u32_e32 vcc_lo, v19, v21
	v_add_co_ci_u32_e64 v2, null, v2, v4, vcc_lo
	s_waitcnt vmcnt(6)
	v_cmp_ne_u32_e32 vcc_lo, v20, v7
	v_add_co_u32 v2, s0, v2, v10
	v_cndmask_b32_e64 v4, 0, 1, vcc_lo
	s_waitcnt vmcnt(4)
	v_cmp_ne_u32_e32 vcc_lo, v8, v5
	v_add_co_ci_u32_e64 v7, null, 0, 0, s0
	s_waitcnt vmcnt(2)
	v_cmp_ne_u32_e64 s0, v9, v6
	v_cndmask_b32_e64 v5, 0, 1, vcc_lo
	v_add_co_u32 v2, vcc_lo, v2, v4
	v_cndmask_b32_e64 v4, 0, 1, s0
	v_add_co_ci_u32_e64 v6, null, 0, v7, vcc_lo
	v_add_co_u32 v2, vcc_lo, v2, v5
	s_waitcnt vmcnt(0)
	v_cmp_ne_u32_e64 s0, v3, v1
	v_add_co_ci_u32_e64 v3, null, 0, v6, vcc_lo
	v_add_co_u32 v2, vcc_lo, v2, v4
	v_cndmask_b32_e64 v1, 0, 1, s0
	v_add_co_ci_u32_e64 v3, null, 0, v3, vcc_lo
	v_mov_b32_e32 v4, 0
	s_mov_b32 s0, exec_lo
	v_add_co_u32 v1, vcc_lo, v2, v1
	v_add_co_ci_u32_e64 v2, null, 0, v3, vcc_lo
	v_mov_b32_dpp v3, v1 quad_perm:[1,0,3,2] row_mask:0xf bank_mask:0xf
	v_add_co_u32 v1, vcc_lo, v1, v3
	v_mov_b32_dpp v3, v4 quad_perm:[1,0,3,2] row_mask:0xf bank_mask:0xf
	v_add_co_ci_u32_e64 v2, null, 0, v2, vcc_lo
	v_mov_b32_dpp v5, v1 quad_perm:[2,3,0,1] row_mask:0xf bank_mask:0xf
	v_add_co_u32 v1, vcc_lo, 0, v1
	v_add_co_ci_u32_e64 v2, null, v3, v2, vcc_lo
	v_add_co_u32 v1, vcc_lo, v1, v5
	v_mov_b32_dpp v3, v2 quad_perm:[2,3,0,1] row_mask:0xf bank_mask:0xf
	v_add_co_ci_u32_e64 v2, null, 0, v2, vcc_lo
	v_mov_b32_dpp v5, v1 row_ror:4 row_mask:0xf bank_mask:0xf
	v_add_co_u32 v1, vcc_lo, v1, 0
	v_add_co_ci_u32_e64 v2, null, v2, v3, vcc_lo
	v_add_co_u32 v1, vcc_lo, v1, v5
	v_mov_b32_dpp v3, v2 row_ror:4 row_mask:0xf bank_mask:0xf
	v_add_co_ci_u32_e64 v2, null, 0, v2, vcc_lo
	v_mov_b32_dpp v5, v1 row_ror:8 row_mask:0xf bank_mask:0xf
	v_add_co_u32 v1, vcc_lo, v1, 0
	v_add_co_ci_u32_e64 v2, null, v2, v3, vcc_lo
	v_add_co_u32 v1, vcc_lo, v1, v5
	v_mov_b32_dpp v3, v2 row_ror:8 row_mask:0xf bank_mask:0xf
	v_add_co_ci_u32_e64 v2, null, 0, v2, vcc_lo
	ds_swizzle_b32 v5, v1 offset:swizzle(BROADCAST,32,15)
	v_add_co_u32 v1, vcc_lo, v1, 0
	v_add_co_ci_u32_e64 v2, null, v2, v3, vcc_lo
	ds_swizzle_b32 v3, v2 offset:swizzle(BROADCAST,32,15)
	s_waitcnt lgkmcnt(1)
	v_add_co_u32 v1, vcc_lo, v1, v5
	v_add_co_ci_u32_e64 v2, null, 0, v2, vcc_lo
	ds_bpermute_b32 v1, v4, v1 offset:124
	s_waitcnt lgkmcnt(1)
	v_add_nc_u32_e32 v2, v3, v2
	v_mbcnt_lo_u32_b32 v3, -1, 0
	ds_bpermute_b32 v2, v4, v2 offset:124
	v_cmpx_eq_u32_e32 0, v3
	s_cbranch_execz .LBB55_18
; %bb.17:
	v_lshrrev_b32_e32 v4, 2, v0
	v_and_b32_e32 v4, 56, v4
	s_waitcnt lgkmcnt(0)
	ds_write_b64 v4, v[1:2] offset:256
.LBB55_18:
	s_or_b32 exec_lo, exec_lo, s0
	s_mov_b32 s0, exec_lo
	s_waitcnt lgkmcnt(0)
	s_barrier
	buffer_gl0_inv
	v_cmpx_gt_u32_e32 32, v0
	s_cbranch_execz .LBB55_20
; %bb.19:
	v_and_b32_e32 v4, 7, v3
	v_lshlrev_b32_e32 v1, 3, v4
	v_cmp_ne_u32_e32 vcc_lo, 7, v4
	ds_read_b64 v[1:2], v1 offset:256
	v_add_co_ci_u32_e64 v5, null, 0, v3, vcc_lo
	v_cmp_gt_u32_e32 vcc_lo, 6, v4
	v_lshlrev_b32_e32 v5, 2, v5
	v_cndmask_b32_e64 v4, 0, 2, vcc_lo
	v_add_lshl_u32 v4, v4, v3, 2
	v_lshlrev_b32_e32 v3, 2, v3
	v_or_b32_e32 v3, 16, v3
	s_waitcnt lgkmcnt(0)
	ds_bpermute_b32 v6, v5, v1
	ds_bpermute_b32 v5, v5, v2
	s_waitcnt lgkmcnt(1)
	v_add_co_u32 v1, vcc_lo, v1, v6
	v_add_co_ci_u32_e64 v2, null, 0, v2, vcc_lo
	ds_bpermute_b32 v6, v4, v1
	v_add_co_u32 v1, vcc_lo, 0, v1
	s_waitcnt lgkmcnt(1)
	v_add_co_ci_u32_e64 v2, null, v5, v2, vcc_lo
	ds_bpermute_b32 v4, v4, v2
	s_waitcnt lgkmcnt(1)
	v_add_co_u32 v1, vcc_lo, v1, v6
	v_add_co_ci_u32_e64 v2, null, 0, v2, vcc_lo
	ds_bpermute_b32 v5, v3, v1
	v_add_co_u32 v1, vcc_lo, v1, 0
	s_waitcnt lgkmcnt(1)
	v_add_co_ci_u32_e64 v2, null, v2, v4, vcc_lo
	ds_bpermute_b32 v3, v3, v2
	s_waitcnt lgkmcnt(1)
	v_add_co_u32 v1, vcc_lo, v1, v5
	v_add_co_ci_u32_e64 v2, null, 0, v2, vcc_lo
	v_add_co_u32 v1, vcc_lo, v1, 0
	s_waitcnt lgkmcnt(0)
	v_add_co_ci_u32_e64 v2, null, v2, v3, vcc_lo
.LBB55_20:
	s_or_b32 exec_lo, exec_lo, s0
	s_mov_b32 s0, 0
	s_branch .LBB55_78
.LBB55_21:
	s_mov_b32 s0, -1
                                        ; implicit-def: $vgpr1_vgpr2
.LBB55_22:
	s_and_b32 vcc_lo, exec_lo, s0
	s_cbranch_vccz .LBB55_76
; %bb.23:
	v_mov_b32_e32 v1, 0
	s_sub_i32 s33, s20, s2
	v_cmp_gt_u32_e32 vcc_lo, s33, v0
	v_mov_b32_e32 v2, v1
	v_mov_b32_e32 v3, v1
	v_mov_b32_e32 v4, v1
	v_mov_b32_e32 v5, v1
	v_mov_b32_e32 v6, v1
	v_mov_b32_e32 v7, v1
	v_mov_b32_e32 v8, v1
	v_mov_b32_e32 v9, v1
	v_mov_b32_e32 v10, v1
	v_mov_b32_e32 v11, v1
	v_mov_b32_e32 v12, v1
	v_mov_b32_e32 v13, v1
	v_mov_b32_e32 v14, v1
	v_mov_b32_e32 v15, v1
	v_mov_b32_e32 v16, v1
	v_mov_b32_e32 v17, v1
	v_mov_b32_e32 v18, v1
	v_mov_b32_e32 v19, v1
	v_mov_b32_e32 v20, v1
	v_mov_b32_e32 v21, v1
	v_mov_b32_e32 v22, v1
	v_mov_b32_e32 v23, v1
	v_mov_b32_e32 v24, v1
	v_mov_b32_e32 v25, v1
	v_mov_b32_e32 v26, v1
	v_mov_b32_e32 v27, v1
	v_mov_b32_e32 v28, v1
	v_mov_b32_e32 v29, v1
	v_mov_b32_e32 v30, v1
	v_mov_b32_e32 v31, v1
	v_mov_b32_e32 v32, v1
	s_and_saveexec_b32 s0, vcc_lo
	s_cbranch_execz .LBB55_25
; %bb.24:
	v_lshlrev_b32_e32 v2, 2, v0
	v_mov_b32_e32 v3, v1
	v_mov_b32_e32 v4, v1
	;; [unrolled: 1-line block ×4, first 2 shown]
	s_clause 0x1
	global_load_dword v33, v2, s[18:19]
	global_load_dword v34, v2, s[28:29]
	v_mov_b32_e32 v2, v1
	v_mov_b32_e32 v7, v1
	;; [unrolled: 1-line block ×27, first 2 shown]
	s_waitcnt vmcnt(0)
	v_cmp_ne_u32_e32 vcc_lo, v33, v34
	v_cndmask_b32_e64 v1, 0, 1, vcc_lo
.LBB55_25:
	s_or_b32 exec_lo, exec_lo, s0
	v_or_b32_e32 v33, 0x100, v0
	v_cmp_gt_u32_e32 vcc_lo, s33, v33
	s_and_saveexec_b32 s1, vcc_lo
	s_cbranch_execz .LBB55_27
; %bb.26:
	v_lshlrev_b32_e32 v3, 2, v0
	s_mov_b32 s2, 0
	s_clause 0x1
	global_load_dword v4, v3, s[18:19] offset:1024
	global_load_dword v3, v3, s[28:29] offset:1024
	s_waitcnt vmcnt(0)
	v_cmp_ne_u32_e64 s0, v4, v3
	v_mov_b32_e32 v4, s2
	v_cndmask_b32_e64 v3, 0, 1, s0
.LBB55_27:
	s_or_b32 exec_lo, exec_lo, s1
	v_or_b32_e32 v33, 0x200, v0
	v_cmp_gt_u32_e64 s0, s33, v33
	s_and_saveexec_b32 s2, s0
	s_cbranch_execz .LBB55_29
; %bb.28:
	v_lshlrev_b32_e32 v5, 2, v33
	s_mov_b32 s3, 0
	s_clause 0x1
	global_load_dword v6, v5, s[18:19]
	global_load_dword v5, v5, s[28:29]
	s_waitcnt vmcnt(0)
	v_cmp_ne_u32_e64 s1, v6, v5
	v_mov_b32_e32 v6, s3
	v_cndmask_b32_e64 v5, 0, 1, s1
.LBB55_29:
	s_or_b32 exec_lo, exec_lo, s2
	v_or_b32_e32 v33, 0x300, v0
	v_cmp_gt_u32_e64 s1, s33, v33
	s_and_saveexec_b32 s3, s1
	s_cbranch_execz .LBB55_31
; %bb.30:
	v_lshlrev_b32_e32 v7, 2, v33
	s_mov_b32 s8, 0
	s_clause 0x1
	global_load_dword v8, v7, s[18:19]
	global_load_dword v7, v7, s[28:29]
	s_waitcnt vmcnt(0)
	v_cmp_ne_u32_e64 s2, v8, v7
	v_mov_b32_e32 v8, s8
	v_cndmask_b32_e64 v7, 0, 1, s2
.LBB55_31:
	;; [unrolled: 16-line block ×13, first 2 shown]
	s_or_b32 exec_lo, exec_lo, s34
	v_or_b32_e32 v33, 0xf00, v0
	v_cmp_gt_u32_e64 s17, s33, v33
	s_and_saveexec_b32 s34, s17
	s_cbranch_execz .LBB55_55
; %bb.54:
	v_lshlrev_b32_e32 v31, 2, v33
	s_clause 0x1
	global_load_dword v32, v31, s[18:19]
	global_load_dword v31, v31, s[28:29]
	s_mov_b32 s19, 0
	s_waitcnt vmcnt(0)
	v_cmp_ne_u32_e64 s18, v32, v31
	v_mov_b32_e32 v32, s19
	v_cndmask_b32_e64 v31, 0, 1, s18
.LBB55_55:
	s_or_b32 exec_lo, exec_lo, s34
	v_cndmask_b32_e32 v3, 0, v3, vcc_lo
	v_cndmask_b32_e32 v4, 0, v4, vcc_lo
	v_cndmask_b32_e64 v5, 0, v5, s0
	v_cndmask_b32_e64 v6, 0, v6, s0
	s_min_u32 s0, s33, 0x100
	v_add_co_u32 v1, vcc_lo, v3, v1
	v_add_co_ci_u32_e64 v2, null, v4, v2, vcc_lo
	v_cndmask_b32_e64 v3, 0, v7, s1
	v_add_co_u32 v1, vcc_lo, v1, v5
	v_add_co_ci_u32_e64 v2, null, v2, v6, vcc_lo
	v_cndmask_b32_e64 v4, 0, v8, s1
	v_cndmask_b32_e64 v5, 0, v9, s2
	v_add_co_u32 v1, vcc_lo, v1, v3
	v_cndmask_b32_e64 v3, 0, v10, s2
	v_add_co_ci_u32_e64 v2, null, v2, v4, vcc_lo
	v_cndmask_b32_e64 v4, 0, v11, s3
	v_add_co_u32 v1, vcc_lo, v1, v5
	v_add_co_ci_u32_e64 v2, null, v2, v3, vcc_lo
	v_cndmask_b32_e64 v3, 0, v12, s3
	v_cndmask_b32_e64 v5, 0, v13, s8
	v_add_co_u32 v1, vcc_lo, v1, v4
	v_cndmask_b32_e64 v4, 0, v15, s9
	v_add_co_ci_u32_e64 v2, null, v2, v3, vcc_lo
	v_cndmask_b32_e64 v3, 0, v14, s8
	v_add_co_u32 v1, vcc_lo, v1, v5
	v_cndmask_b32_e64 v5, 0, v17, s10
	v_cndmask_b32_e64 v6, 0, v31, s17
	v_add_co_ci_u32_e64 v2, null, v2, v3, vcc_lo
	v_cndmask_b32_e64 v3, 0, v16, s9
	v_add_co_u32 v1, vcc_lo, v1, v4
	v_cndmask_b32_e64 v4, 0, v19, s11
	v_add_co_ci_u32_e64 v2, null, v2, v3, vcc_lo
	v_cndmask_b32_e64 v3, 0, v18, s10
	v_add_co_u32 v1, vcc_lo, v1, v5
	;; [unrolled: 4-line block ×6, first 2 shown]
	v_cndmask_b32_e64 v5, 0, v28, s15
	v_add_co_ci_u32_e64 v2, null, v2, v3, vcc_lo
	v_mbcnt_lo_u32_b32 v3, -1, 0
	v_add_co_u32 v1, vcc_lo, v1, v4
	v_add_co_ci_u32_e64 v2, null, v2, v5, vcc_lo
	v_cndmask_b32_e64 v5, 0, v29, s16
	v_cmp_ne_u32_e32 vcc_lo, 31, v3
	v_cndmask_b32_e64 v4, 0, v30, s16
	v_add_co_ci_u32_e64 v7, null, 0, v3, vcc_lo
	v_add_co_u32 v1, vcc_lo, v1, v5
	v_add_co_ci_u32_e64 v2, null, v2, v4, vcc_lo
	v_cndmask_b32_e64 v4, 0, v32, s17
	v_add_co_u32 v1, vcc_lo, v1, v6
	v_lshlrev_b32_e32 v5, 2, v7
	v_add_nc_u32_e32 v6, 1, v3
	v_add_co_ci_u32_e64 v2, null, v2, v4, vcc_lo
	v_and_b32_e32 v4, 0xe0, v0
	ds_bpermute_b32 v7, v5, v1
	ds_bpermute_b32 v5, v5, v2
	v_sub_nc_u32_e64 v4, s0, v4 clamp
	v_cmp_lt_u32_e32 vcc_lo, v6, v4
	v_mov_b32_e32 v6, v1
	s_and_saveexec_b32 s1, vcc_lo
	s_cbranch_execz .LBB55_57
; %bb.56:
	s_waitcnt lgkmcnt(1)
	v_add_co_u32 v6, vcc_lo, v1, v7
	v_add_co_ci_u32_e64 v2, null, 0, v2, vcc_lo
	v_add_co_u32 v1, vcc_lo, v6, 0
	s_waitcnt lgkmcnt(0)
	v_add_co_ci_u32_e64 v2, null, v2, v5, vcc_lo
.LBB55_57:
	s_or_b32 exec_lo, exec_lo, s1
	v_cmp_gt_u32_e32 vcc_lo, 30, v3
	v_add_nc_u32_e32 v8, 2, v3
	s_mov_b32 s1, exec_lo
	s_waitcnt lgkmcnt(0)
	v_cndmask_b32_e64 v5, 0, 2, vcc_lo
	v_add_lshl_u32 v5, v5, v3, 2
	ds_bpermute_b32 v7, v5, v6
	ds_bpermute_b32 v5, v5, v2
	v_cmpx_lt_u32_e64 v8, v4
	s_cbranch_execz .LBB55_59
; %bb.58:
	s_waitcnt lgkmcnt(1)
	v_add_co_u32 v6, vcc_lo, v1, v7
	v_add_co_ci_u32_e64 v2, null, 0, v2, vcc_lo
	v_add_co_u32 v1, vcc_lo, 0, v6
	s_waitcnt lgkmcnt(0)
	v_add_co_ci_u32_e64 v2, null, v5, v2, vcc_lo
.LBB55_59:
	s_or_b32 exec_lo, exec_lo, s1
	v_cmp_gt_u32_e32 vcc_lo, 28, v3
	v_add_nc_u32_e32 v8, 4, v3
	s_mov_b32 s1, exec_lo
	s_waitcnt lgkmcnt(0)
	v_cndmask_b32_e64 v5, 0, 4, vcc_lo
	v_add_lshl_u32 v5, v5, v3, 2
	ds_bpermute_b32 v7, v5, v6
	ds_bpermute_b32 v5, v5, v2
	v_cmpx_lt_u32_e64 v8, v4
	s_cbranch_execz .LBB55_61
; %bb.60:
	s_waitcnt lgkmcnt(1)
	v_add_co_u32 v6, vcc_lo, v1, v7
	v_add_co_ci_u32_e64 v2, null, 0, v2, vcc_lo
	v_add_co_u32 v1, vcc_lo, 0, v6
	s_waitcnt lgkmcnt(0)
	v_add_co_ci_u32_e64 v2, null, v5, v2, vcc_lo
.LBB55_61:
	s_or_b32 exec_lo, exec_lo, s1
	v_cmp_gt_u32_e32 vcc_lo, 24, v3
	v_add_nc_u32_e32 v8, 8, v3
	s_mov_b32 s1, exec_lo
	s_waitcnt lgkmcnt(0)
	v_cndmask_b32_e64 v5, 0, 8, vcc_lo
	v_add_lshl_u32 v5, v5, v3, 2
	ds_bpermute_b32 v7, v5, v6
	ds_bpermute_b32 v5, v5, v2
	v_cmpx_lt_u32_e64 v8, v4
	s_cbranch_execz .LBB55_63
; %bb.62:
	s_waitcnt lgkmcnt(1)
	v_add_co_u32 v6, vcc_lo, v1, v7
	v_add_co_ci_u32_e64 v2, null, 0, v2, vcc_lo
	v_add_co_u32 v1, vcc_lo, 0, v6
	s_waitcnt lgkmcnt(0)
	v_add_co_ci_u32_e64 v2, null, v5, v2, vcc_lo
.LBB55_63:
	s_or_b32 exec_lo, exec_lo, s1
	s_waitcnt lgkmcnt(0)
	v_lshlrev_b32_e32 v5, 2, v3
	s_mov_b32 s1, exec_lo
	v_or_b32_e32 v8, 64, v5
	ds_bpermute_b32 v7, v8, v6
	ds_bpermute_b32 v6, v8, v2
	v_add_nc_u32_e32 v8, 16, v3
	v_cmpx_lt_u32_e64 v8, v4
	s_cbranch_execz .LBB55_65
; %bb.64:
	s_waitcnt lgkmcnt(1)
	v_add_co_u32 v1, vcc_lo, v1, v7
	v_add_co_ci_u32_e64 v2, null, 0, v2, vcc_lo
	v_add_co_u32 v1, vcc_lo, v1, 0
	s_waitcnt lgkmcnt(0)
	v_add_co_ci_u32_e64 v2, null, v2, v6, vcc_lo
.LBB55_65:
	s_or_b32 exec_lo, exec_lo, s1
	s_mov_b32 s1, exec_lo
	v_cmpx_eq_u32_e32 0, v3
; %bb.66:
	v_lshrrev_b32_e32 v4, 2, v0
	v_and_b32_e32 v4, 56, v4
	ds_write_b64 v4, v[1:2] offset:320
; %bb.67:
	s_or_b32 exec_lo, exec_lo, s1
	s_mov_b32 s1, exec_lo
	s_waitcnt lgkmcnt(0)
	s_barrier
	buffer_gl0_inv
	v_cmpx_gt_u32_e32 8, v0
	s_cbranch_execz .LBB55_75
; %bb.68:
	v_lshlrev_b32_e32 v1, 3, v3
	v_and_b32_e32 v4, 7, v3
	s_add_i32 s0, s0, 31
	s_lshr_b32 s0, s0, 5
	ds_read_b64 v[1:2], v1 offset:320
	v_cmp_ne_u32_e32 vcc_lo, 7, v4
	v_add_co_ci_u32_e64 v6, null, 0, v3, vcc_lo
	v_lshlrev_b32_e32 v6, 2, v6
	s_waitcnt lgkmcnt(0)
	ds_bpermute_b32 v8, v6, v1
	ds_bpermute_b32 v7, v6, v2
	v_add_nc_u32_e32 v6, 1, v4
	v_cmp_gt_u32_e32 vcc_lo, s0, v6
	v_mov_b32_e32 v6, v1
	s_and_saveexec_b32 s2, vcc_lo
	s_cbranch_execz .LBB55_70
; %bb.69:
	s_waitcnt lgkmcnt(1)
	v_add_co_u32 v6, vcc_lo, v1, v8
	v_add_co_ci_u32_e64 v2, null, 0, v2, vcc_lo
	v_add_co_u32 v1, vcc_lo, 0, v6
	s_waitcnt lgkmcnt(0)
	v_add_co_ci_u32_e64 v2, null, v7, v2, vcc_lo
.LBB55_70:
	s_or_b32 exec_lo, exec_lo, s2
	v_cmp_gt_u32_e32 vcc_lo, 6, v4
	s_waitcnt lgkmcnt(1)
	v_add_nc_u32_e32 v8, 2, v4
	s_mov_b32 s2, exec_lo
	s_waitcnt lgkmcnt(0)
	v_cndmask_b32_e64 v7, 0, 2, vcc_lo
	v_add_lshl_u32 v3, v7, v3, 2
	ds_bpermute_b32 v7, v3, v6
	ds_bpermute_b32 v3, v3, v2
	v_cmpx_gt_u32_e64 s0, v8
	s_cbranch_execz .LBB55_72
; %bb.71:
	s_waitcnt lgkmcnt(1)
	v_add_co_u32 v6, vcc_lo, v1, v7
	v_add_co_ci_u32_e64 v2, null, 0, v2, vcc_lo
	v_add_co_u32 v1, vcc_lo, 0, v6
	s_waitcnt lgkmcnt(0)
	v_add_co_ci_u32_e64 v2, null, v3, v2, vcc_lo
.LBB55_72:
	s_or_b32 exec_lo, exec_lo, s2
	s_waitcnt lgkmcnt(0)
	v_or_b32_e32 v3, 16, v5
	v_add_nc_u32_e32 v4, 4, v4
	ds_bpermute_b32 v5, v3, v6
	ds_bpermute_b32 v3, v3, v2
	v_cmp_gt_u32_e32 vcc_lo, s0, v4
	s_and_saveexec_b32 s0, vcc_lo
	s_cbranch_execz .LBB55_74
; %bb.73:
	s_waitcnt lgkmcnt(1)
	v_add_co_u32 v1, vcc_lo, v1, v5
	v_add_co_ci_u32_e64 v2, null, 0, v2, vcc_lo
	v_add_co_u32 v1, vcc_lo, v1, 0
	s_waitcnt lgkmcnt(0)
	v_add_co_ci_u32_e64 v2, null, v2, v3, vcc_lo
.LBB55_74:
	s_or_b32 exec_lo, exec_lo, s0
.LBB55_75:
	s_or_b32 exec_lo, exec_lo, s1
.LBB55_76:
	s_waitcnt lgkmcnt(0)
	v_mov_b32_e32 v3, s6
	v_cmp_eq_u32_e64 s0, 0, v0
	v_mov_b32_e32 v4, s7
	s_and_b32 vcc_lo, exec_lo, s31
	s_cbranch_vccnz .LBB55_14
	s_branch .LBB55_117
.LBB55_77:
	s_mov_b32 s0, -1
                                        ; implicit-def: $vgpr1_vgpr2
.LBB55_78:
	s_and_b32 vcc_lo, exec_lo, s0
	s_cbranch_vccz .LBB55_116
; %bb.79:
	v_mov_b32_e32 v1, 0
	s_sub_i32 s14, s20, s2
	s_mov_b32 s0, exec_lo
	v_mov_b32_e32 v2, v1
	v_mov_b32_e32 v3, v1
	;; [unrolled: 1-line block ×15, first 2 shown]
	v_cmpx_gt_u32_e64 s14, v0
	s_cbranch_execz .LBB55_81
; %bb.80:
	v_lshlrev_b32_e32 v2, 2, v0
	v_mov_b32_e32 v17, v1
	v_mov_b32_e32 v3, v1
	;; [unrolled: 1-line block ×4, first 2 shown]
	s_clause 0x1
	global_load_dword v13, v2, s[10:11]
	global_load_dword v2, v2, s[12:13]
	v_mov_b32_e32 v6, v1
	v_mov_b32_e32 v7, v1
	;; [unrolled: 1-line block ×10, first 2 shown]
	s_waitcnt vmcnt(0)
	v_cmp_ne_u32_e32 vcc_lo, v13, v2
	v_mov_b32_e32 v13, v1
	v_cndmask_b32_e64 v2, 0, 1, vcc_lo
	v_and_b32_e32 v2, 0xffff, v2
	v_mov_b32_e32 v1, v2
	v_mov_b32_e32 v2, v3
	;; [unrolled: 1-line block ×16, first 2 shown]
.LBB55_81:
	s_or_b32 exec_lo, exec_lo, s0
	v_or_b32_e32 v17, 0x100, v0
	v_cmp_gt_u32_e32 vcc_lo, s14, v17
	s_and_saveexec_b32 s1, vcc_lo
	s_cbranch_execz .LBB55_83
; %bb.82:
	v_lshlrev_b32_e32 v3, 2, v0
	s_mov_b32 s2, 0
	s_clause 0x1
	global_load_dword v4, v3, s[10:11] offset:1024
	global_load_dword v3, v3, s[12:13] offset:1024
	s_waitcnt vmcnt(0)
	v_cmp_ne_u32_e64 s0, v4, v3
	v_mov_b32_e32 v4, s2
	v_cndmask_b32_e64 v3, 0, 1, s0
.LBB55_83:
	s_or_b32 exec_lo, exec_lo, s1
	v_or_b32_e32 v17, 0x200, v0
	v_cmp_gt_u32_e64 s0, s14, v17
	s_and_saveexec_b32 s2, s0
	s_cbranch_execz .LBB55_85
; %bb.84:
	v_lshlrev_b32_e32 v5, 2, v17
	s_mov_b32 s3, 0
	s_clause 0x1
	global_load_dword v6, v5, s[10:11]
	global_load_dword v5, v5, s[12:13]
	s_waitcnt vmcnt(0)
	v_cmp_ne_u32_e64 s1, v6, v5
	v_mov_b32_e32 v6, s3
	v_cndmask_b32_e64 v5, 0, 1, s1
.LBB55_85:
	s_or_b32 exec_lo, exec_lo, s2
	v_or_b32_e32 v17, 0x300, v0
	v_cmp_gt_u32_e64 s1, s14, v17
	s_and_saveexec_b32 s3, s1
	s_cbranch_execz .LBB55_87
; %bb.86:
	v_lshlrev_b32_e32 v7, 2, v17
	s_mov_b32 s8, 0
	s_clause 0x1
	global_load_dword v8, v7, s[10:11]
	global_load_dword v7, v7, s[12:13]
	s_waitcnt vmcnt(0)
	v_cmp_ne_u32_e64 s2, v8, v7
	v_mov_b32_e32 v8, s8
	v_cndmask_b32_e64 v7, 0, 1, s2
.LBB55_87:
	;; [unrolled: 16-line block ×5, first 2 shown]
	s_or_b32 exec_lo, exec_lo, s15
	v_or_b32_e32 v17, 0x700, v0
	v_cmp_gt_u32_e64 s9, s14, v17
	s_and_saveexec_b32 s15, s9
	s_cbranch_execz .LBB55_95
; %bb.94:
	v_lshlrev_b32_e32 v15, 2, v17
	s_clause 0x1
	global_load_dword v16, v15, s[10:11]
	global_load_dword v15, v15, s[12:13]
	s_mov_b32 s11, 0
	s_waitcnt vmcnt(0)
	v_cmp_ne_u32_e64 s10, v16, v15
	v_mov_b32_e32 v16, s11
	v_cndmask_b32_e64 v15, 0, 1, s10
.LBB55_95:
	s_or_b32 exec_lo, exec_lo, s15
	v_cndmask_b32_e32 v3, 0, v3, vcc_lo
	v_cndmask_b32_e32 v4, 0, v4, vcc_lo
	v_cndmask_b32_e64 v5, 0, v5, s0
	v_cndmask_b32_e64 v6, 0, v6, s0
	s_min_u32 s0, s14, 0x100
	v_add_co_u32 v1, vcc_lo, v3, v1
	v_add_co_ci_u32_e64 v2, null, v4, v2, vcc_lo
	v_cndmask_b32_e64 v3, 0, v7, s1
	v_add_co_u32 v1, vcc_lo, v1, v5
	v_add_co_ci_u32_e64 v2, null, v2, v6, vcc_lo
	v_cndmask_b32_e64 v4, 0, v8, s1
	v_cndmask_b32_e64 v5, 0, v9, s2
	v_add_co_u32 v1, vcc_lo, v1, v3
	v_cndmask_b32_e64 v3, 0, v10, s2
	v_add_co_ci_u32_e64 v2, null, v2, v4, vcc_lo
	v_cndmask_b32_e64 v4, 0, v11, s3
	v_add_co_u32 v1, vcc_lo, v1, v5
	v_add_co_ci_u32_e64 v2, null, v2, v3, vcc_lo
	v_cndmask_b32_e64 v5, 0, v12, s3
	v_mbcnt_lo_u32_b32 v3, -1, 0
	v_add_co_u32 v1, vcc_lo, v1, v4
	v_cndmask_b32_e64 v4, 0, v14, s8
	v_add_co_ci_u32_e64 v2, null, v2, v5, vcc_lo
	v_cndmask_b32_e64 v5, 0, v13, s8
	v_cmp_ne_u32_e32 vcc_lo, 31, v3
	v_cndmask_b32_e64 v6, 0, v15, s9
	v_add_co_ci_u32_e64 v7, null, 0, v3, vcc_lo
	v_add_co_u32 v1, vcc_lo, v1, v5
	v_add_co_ci_u32_e64 v2, null, v2, v4, vcc_lo
	v_cndmask_b32_e64 v4, 0, v16, s9
	v_add_co_u32 v1, vcc_lo, v1, v6
	v_lshlrev_b32_e32 v5, 2, v7
	v_add_nc_u32_e32 v6, 1, v3
	v_add_co_ci_u32_e64 v2, null, v2, v4, vcc_lo
	v_and_b32_e32 v4, 0xe0, v0
	ds_bpermute_b32 v7, v5, v1
	ds_bpermute_b32 v5, v5, v2
	v_sub_nc_u32_e64 v4, s0, v4 clamp
	v_cmp_lt_u32_e32 vcc_lo, v6, v4
	v_mov_b32_e32 v6, v1
	s_and_saveexec_b32 s1, vcc_lo
	s_cbranch_execz .LBB55_97
; %bb.96:
	s_waitcnt lgkmcnt(1)
	v_add_co_u32 v6, vcc_lo, v1, v7
	v_add_co_ci_u32_e64 v2, null, 0, v2, vcc_lo
	v_add_co_u32 v1, vcc_lo, v6, 0
	s_waitcnt lgkmcnt(0)
	v_add_co_ci_u32_e64 v2, null, v2, v5, vcc_lo
.LBB55_97:
	s_or_b32 exec_lo, exec_lo, s1
	v_cmp_gt_u32_e32 vcc_lo, 30, v3
	v_add_nc_u32_e32 v8, 2, v3
	s_mov_b32 s1, exec_lo
	s_waitcnt lgkmcnt(0)
	v_cndmask_b32_e64 v5, 0, 2, vcc_lo
	v_add_lshl_u32 v5, v5, v3, 2
	ds_bpermute_b32 v7, v5, v6
	ds_bpermute_b32 v5, v5, v2
	v_cmpx_lt_u32_e64 v8, v4
	s_cbranch_execz .LBB55_99
; %bb.98:
	s_waitcnt lgkmcnt(1)
	v_add_co_u32 v6, vcc_lo, v1, v7
	v_add_co_ci_u32_e64 v2, null, 0, v2, vcc_lo
	v_add_co_u32 v1, vcc_lo, 0, v6
	s_waitcnt lgkmcnt(0)
	v_add_co_ci_u32_e64 v2, null, v5, v2, vcc_lo
.LBB55_99:
	s_or_b32 exec_lo, exec_lo, s1
	v_cmp_gt_u32_e32 vcc_lo, 28, v3
	v_add_nc_u32_e32 v8, 4, v3
	s_mov_b32 s1, exec_lo
	s_waitcnt lgkmcnt(0)
	v_cndmask_b32_e64 v5, 0, 4, vcc_lo
	v_add_lshl_u32 v5, v5, v3, 2
	ds_bpermute_b32 v7, v5, v6
	ds_bpermute_b32 v5, v5, v2
	v_cmpx_lt_u32_e64 v8, v4
	s_cbranch_execz .LBB55_101
; %bb.100:
	s_waitcnt lgkmcnt(1)
	v_add_co_u32 v6, vcc_lo, v1, v7
	v_add_co_ci_u32_e64 v2, null, 0, v2, vcc_lo
	v_add_co_u32 v1, vcc_lo, 0, v6
	s_waitcnt lgkmcnt(0)
	v_add_co_ci_u32_e64 v2, null, v5, v2, vcc_lo
.LBB55_101:
	s_or_b32 exec_lo, exec_lo, s1
	v_cmp_gt_u32_e32 vcc_lo, 24, v3
	v_add_nc_u32_e32 v8, 8, v3
	s_mov_b32 s1, exec_lo
	s_waitcnt lgkmcnt(0)
	v_cndmask_b32_e64 v5, 0, 8, vcc_lo
	v_add_lshl_u32 v5, v5, v3, 2
	ds_bpermute_b32 v7, v5, v6
	ds_bpermute_b32 v5, v5, v2
	v_cmpx_lt_u32_e64 v8, v4
	s_cbranch_execz .LBB55_103
; %bb.102:
	s_waitcnt lgkmcnt(1)
	v_add_co_u32 v6, vcc_lo, v1, v7
	v_add_co_ci_u32_e64 v2, null, 0, v2, vcc_lo
	v_add_co_u32 v1, vcc_lo, 0, v6
	s_waitcnt lgkmcnt(0)
	v_add_co_ci_u32_e64 v2, null, v5, v2, vcc_lo
.LBB55_103:
	s_or_b32 exec_lo, exec_lo, s1
	s_waitcnt lgkmcnt(0)
	v_lshlrev_b32_e32 v5, 2, v3
	s_mov_b32 s1, exec_lo
	v_or_b32_e32 v8, 64, v5
	ds_bpermute_b32 v7, v8, v6
	ds_bpermute_b32 v6, v8, v2
	v_add_nc_u32_e32 v8, 16, v3
	v_cmpx_lt_u32_e64 v8, v4
	s_cbranch_execz .LBB55_105
; %bb.104:
	s_waitcnt lgkmcnt(1)
	v_add_co_u32 v1, vcc_lo, v1, v7
	v_add_co_ci_u32_e64 v2, null, 0, v2, vcc_lo
	v_add_co_u32 v1, vcc_lo, v1, 0
	s_waitcnt lgkmcnt(0)
	v_add_co_ci_u32_e64 v2, null, v2, v6, vcc_lo
.LBB55_105:
	s_or_b32 exec_lo, exec_lo, s1
	s_mov_b32 s1, exec_lo
	v_cmpx_eq_u32_e32 0, v3
; %bb.106:
	v_lshrrev_b32_e32 v4, 2, v0
	v_and_b32_e32 v4, 56, v4
	ds_write_b64 v4, v[1:2] offset:320
; %bb.107:
	s_or_b32 exec_lo, exec_lo, s1
	s_mov_b32 s1, exec_lo
	s_waitcnt lgkmcnt(0)
	s_barrier
	buffer_gl0_inv
	v_cmpx_gt_u32_e32 8, v0
	s_cbranch_execz .LBB55_115
; %bb.108:
	v_lshlrev_b32_e32 v1, 3, v3
	v_and_b32_e32 v4, 7, v3
	s_add_i32 s0, s0, 31
	s_lshr_b32 s0, s0, 5
	ds_read_b64 v[1:2], v1 offset:320
	v_cmp_ne_u32_e32 vcc_lo, 7, v4
	v_add_co_ci_u32_e64 v6, null, 0, v3, vcc_lo
	v_lshlrev_b32_e32 v6, 2, v6
	s_waitcnt lgkmcnt(0)
	ds_bpermute_b32 v8, v6, v1
	ds_bpermute_b32 v7, v6, v2
	v_add_nc_u32_e32 v6, 1, v4
	v_cmp_gt_u32_e32 vcc_lo, s0, v6
	v_mov_b32_e32 v6, v1
	s_and_saveexec_b32 s2, vcc_lo
	s_cbranch_execz .LBB55_110
; %bb.109:
	s_waitcnt lgkmcnt(1)
	v_add_co_u32 v6, vcc_lo, v1, v8
	v_add_co_ci_u32_e64 v2, null, 0, v2, vcc_lo
	v_add_co_u32 v1, vcc_lo, 0, v6
	s_waitcnt lgkmcnt(0)
	v_add_co_ci_u32_e64 v2, null, v7, v2, vcc_lo
.LBB55_110:
	s_or_b32 exec_lo, exec_lo, s2
	v_cmp_gt_u32_e32 vcc_lo, 6, v4
	s_waitcnt lgkmcnt(1)
	v_add_nc_u32_e32 v8, 2, v4
	s_mov_b32 s2, exec_lo
	s_waitcnt lgkmcnt(0)
	v_cndmask_b32_e64 v7, 0, 2, vcc_lo
	v_add_lshl_u32 v3, v7, v3, 2
	ds_bpermute_b32 v7, v3, v6
	ds_bpermute_b32 v3, v3, v2
	v_cmpx_gt_u32_e64 s0, v8
	s_cbranch_execz .LBB55_112
; %bb.111:
	s_waitcnt lgkmcnt(1)
	v_add_co_u32 v6, vcc_lo, v1, v7
	v_add_co_ci_u32_e64 v2, null, 0, v2, vcc_lo
	v_add_co_u32 v1, vcc_lo, 0, v6
	s_waitcnt lgkmcnt(0)
	v_add_co_ci_u32_e64 v2, null, v3, v2, vcc_lo
.LBB55_112:
	s_or_b32 exec_lo, exec_lo, s2
	s_waitcnt lgkmcnt(0)
	v_or_b32_e32 v3, 16, v5
	v_add_nc_u32_e32 v4, 4, v4
	ds_bpermute_b32 v5, v3, v6
	ds_bpermute_b32 v3, v3, v2
	v_cmp_gt_u32_e32 vcc_lo, s0, v4
	s_and_saveexec_b32 s0, vcc_lo
	s_cbranch_execz .LBB55_114
; %bb.113:
	s_waitcnt lgkmcnt(1)
	v_add_co_u32 v1, vcc_lo, v1, v5
	v_add_co_ci_u32_e64 v2, null, 0, v2, vcc_lo
	v_add_co_u32 v1, vcc_lo, v1, 0
	s_waitcnt lgkmcnt(0)
	v_add_co_ci_u32_e64 v2, null, v2, v3, vcc_lo
.LBB55_114:
	s_or_b32 exec_lo, exec_lo, s0
.LBB55_115:
	s_or_b32 exec_lo, exec_lo, s1
.LBB55_116:
	s_waitcnt lgkmcnt(0)
	v_mov_b32_e32 v3, s6
	v_cmp_eq_u32_e64 s0, 0, v0
	v_mov_b32_e32 v4, s7
.LBB55_117:
	s_branch .LBB55_156
.LBB55_118:
	s_cmp_eq_u32 s30, 4
                                        ; implicit-def: $vgpr1_vgpr2
                                        ; implicit-def: $vgpr3_vgpr4
	s_cbranch_scc0 .LBB55_156
; %bb.119:
	s_mov_b32 s7, 0
	s_lshl_b32 s0, s6, 10
	s_mov_b32 s1, s7
	s_lshr_b64 s[10:11], s[20:21], 10
	s_lshl_b64 s[8:9], s[0:1], 2
	s_add_u32 s2, s24, s8
	s_addc_u32 s3, s25, s9
	s_add_u32 s8, s26, s8
	s_addc_u32 s9, s27, s9
	s_cmp_lg_u64 s[10:11], s[6:7]
	s_cbranch_scc0 .LBB55_125
; %bb.120:
	v_lshlrev_b32_e32 v5, 2, v0
	v_add_co_u32 v1, s1, s2, v5
	v_add_co_ci_u32_e64 v2, null, s3, 0, s1
	v_add_co_u32 v3, s1, s8, v5
	v_add_co_ci_u32_e64 v4, null, s9, 0, s1
	v_add_co_u32 v1, vcc_lo, 0x800, v1
	v_add_co_ci_u32_e64 v2, null, 0, v2, vcc_lo
	v_add_co_u32 v3, vcc_lo, 0x800, v3
	v_add_co_ci_u32_e64 v4, null, 0, v4, vcc_lo
	s_clause 0x3
	global_load_dword v6, v5, s[8:9] offset:1024
	global_load_dword v7, v5, s[2:3] offset:1024
	global_load_dword v8, v5, s[8:9]
	global_load_dword v5, v5, s[2:3]
	global_load_dword v9, v[3:4], off offset:1024
	s_clause 0x1
	global_load_dword v10, v[1:2], off offset:1024
	global_load_dword v1, v[1:2], off
	global_load_dword v2, v[3:4], off
	s_waitcnt vmcnt(6)
	v_cmp_ne_u32_e32 vcc_lo, v7, v6
	v_cndmask_b32_e64 v3, 0, 1, vcc_lo
	s_waitcnt vmcnt(4)
	v_cmp_ne_u32_e32 vcc_lo, v5, v8
	v_cndmask_b32_e64 v4, 0, 1, vcc_lo
	;; [unrolled: 3-line block ×3, first 2 shown]
	s_waitcnt vmcnt(0)
	v_cmp_ne_u32_e32 vcc_lo, v1, v2
	v_add_co_ci_u32_e64 v1, null, v3, v4, vcc_lo
	v_mov_b32_e32 v4, 0
	v_add_co_u32 v1, s1, v1, v5
	v_add_co_ci_u32_e64 v2, null, 0, 0, s1
	s_mov_b32 s1, exec_lo
	v_mov_b32_dpp v3, v1 quad_perm:[1,0,3,2] row_mask:0xf bank_mask:0xf
	v_add_co_u32 v1, vcc_lo, v1, v3
	v_mov_b32_dpp v3, v4 quad_perm:[1,0,3,2] row_mask:0xf bank_mask:0xf
	v_add_co_ci_u32_e64 v2, null, 0, v2, vcc_lo
	v_mov_b32_dpp v5, v1 quad_perm:[2,3,0,1] row_mask:0xf bank_mask:0xf
	v_add_co_u32 v1, vcc_lo, 0, v1
	v_add_co_ci_u32_e64 v2, null, v3, v2, vcc_lo
	v_add_co_u32 v1, vcc_lo, v1, v5
	v_mov_b32_dpp v3, v2 quad_perm:[2,3,0,1] row_mask:0xf bank_mask:0xf
	v_add_co_ci_u32_e64 v2, null, 0, v2, vcc_lo
	v_mov_b32_dpp v5, v1 row_ror:4 row_mask:0xf bank_mask:0xf
	v_add_co_u32 v1, vcc_lo, v1, 0
	v_add_co_ci_u32_e64 v2, null, v2, v3, vcc_lo
	v_add_co_u32 v1, vcc_lo, v1, v5
	v_mov_b32_dpp v3, v2 row_ror:4 row_mask:0xf bank_mask:0xf
	v_add_co_ci_u32_e64 v2, null, 0, v2, vcc_lo
	v_mov_b32_dpp v5, v1 row_ror:8 row_mask:0xf bank_mask:0xf
	v_add_co_u32 v1, vcc_lo, v1, 0
	v_add_co_ci_u32_e64 v2, null, v2, v3, vcc_lo
	v_add_co_u32 v1, vcc_lo, v1, v5
	v_mov_b32_dpp v3, v2 row_ror:8 row_mask:0xf bank_mask:0xf
	v_add_co_ci_u32_e64 v2, null, 0, v2, vcc_lo
	ds_swizzle_b32 v5, v1 offset:swizzle(BROADCAST,32,15)
	v_add_co_u32 v1, vcc_lo, v1, 0
	v_add_co_ci_u32_e64 v2, null, v2, v3, vcc_lo
	ds_swizzle_b32 v3, v2 offset:swizzle(BROADCAST,32,15)
	s_waitcnt lgkmcnt(1)
	v_add_co_u32 v1, vcc_lo, v1, v5
	v_add_co_ci_u32_e64 v2, null, 0, v2, vcc_lo
	ds_bpermute_b32 v1, v4, v1 offset:124
	s_waitcnt lgkmcnt(1)
	v_add_nc_u32_e32 v2, v3, v2
	v_mbcnt_lo_u32_b32 v3, -1, 0
	ds_bpermute_b32 v2, v4, v2 offset:124
	v_cmpx_eq_u32_e32 0, v3
	s_cbranch_execz .LBB55_122
; %bb.121:
	v_lshrrev_b32_e32 v4, 2, v0
	v_and_b32_e32 v4, 56, v4
	s_waitcnt lgkmcnt(0)
	ds_write_b64 v4, v[1:2] offset:192
.LBB55_122:
	s_or_b32 exec_lo, exec_lo, s1
	s_mov_b32 s1, exec_lo
	s_waitcnt lgkmcnt(0)
	s_barrier
	buffer_gl0_inv
	v_cmpx_gt_u32_e32 32, v0
	s_cbranch_execz .LBB55_124
; %bb.123:
	v_lshl_or_b32 v1, v3, 3, 0xc0
	v_and_b32_e32 v4, 7, v3
	ds_read_b64 v[1:2], v1
	v_cmp_ne_u32_e32 vcc_lo, 7, v4
	v_add_co_ci_u32_e64 v5, null, 0, v3, vcc_lo
	v_cmp_gt_u32_e32 vcc_lo, 6, v4
	v_lshlrev_b32_e32 v5, 2, v5
	v_cndmask_b32_e64 v4, 0, 2, vcc_lo
	v_add_lshl_u32 v4, v4, v3, 2
	v_lshlrev_b32_e32 v3, 2, v3
	s_waitcnt lgkmcnt(0)
	ds_bpermute_b32 v6, v5, v1
	ds_bpermute_b32 v5, v5, v2
	v_or_b32_e32 v3, 16, v3
	s_waitcnt lgkmcnt(1)
	v_add_co_u32 v1, vcc_lo, v1, v6
	v_add_co_ci_u32_e64 v2, null, 0, v2, vcc_lo
	ds_bpermute_b32 v6, v4, v1
	v_add_co_u32 v1, vcc_lo, 0, v1
	s_waitcnt lgkmcnt(1)
	v_add_co_ci_u32_e64 v2, null, v5, v2, vcc_lo
	ds_bpermute_b32 v4, v4, v2
	s_waitcnt lgkmcnt(1)
	v_add_co_u32 v1, vcc_lo, v1, v6
	v_add_co_ci_u32_e64 v2, null, 0, v2, vcc_lo
	ds_bpermute_b32 v5, v3, v1
	v_add_co_u32 v1, vcc_lo, v1, 0
	s_waitcnt lgkmcnt(1)
	v_add_co_ci_u32_e64 v2, null, v2, v4, vcc_lo
	ds_bpermute_b32 v3, v3, v2
	s_waitcnt lgkmcnt(1)
	v_add_co_u32 v1, vcc_lo, v1, v5
	v_add_co_ci_u32_e64 v2, null, 0, v2, vcc_lo
	v_add_co_u32 v1, vcc_lo, v1, 0
	s_waitcnt lgkmcnt(0)
	v_add_co_ci_u32_e64 v2, null, v2, v3, vcc_lo
.LBB55_124:
	s_or_b32 exec_lo, exec_lo, s1
	s_branch .LBB55_155
.LBB55_125:
                                        ; implicit-def: $vgpr1_vgpr2
	s_cbranch_execz .LBB55_155
; %bb.126:
	v_mov_b32_e32 v1, 0
	s_sub_i32 s10, s20, s0
	s_mov_b32 s0, exec_lo
	v_mov_b32_e32 v2, v1
	v_mov_b32_e32 v3, v1
	v_mov_b32_e32 v4, v1
	v_mov_b32_e32 v5, v1
	v_mov_b32_e32 v6, v1
	v_mov_b32_e32 v7, v1
	v_mov_b32_e32 v8, v1
	v_cmpx_gt_u32_e64 s10, v0
	s_cbranch_execz .LBB55_128
; %bb.127:
	v_lshlrev_b32_e32 v2, 2, v0
	v_mov_b32_e32 v9, v1
	v_mov_b32_e32 v3, v1
	;; [unrolled: 1-line block ×4, first 2 shown]
	s_clause 0x1
	global_load_dword v5, v2, s[2:3]
	global_load_dword v2, v2, s[8:9]
	v_mov_b32_e32 v7, v1
	v_mov_b32_e32 v8, v1
	s_waitcnt vmcnt(0)
	v_cmp_ne_u32_e32 vcc_lo, v5, v2
	v_mov_b32_e32 v5, v1
	v_cndmask_b32_e64 v2, 0, 1, vcc_lo
	v_and_b32_e32 v2, 0xffff, v2
	v_mov_b32_e32 v1, v2
	v_mov_b32_e32 v2, v3
	;; [unrolled: 1-line block ×8, first 2 shown]
.LBB55_128:
	s_or_b32 exec_lo, exec_lo, s0
	v_or_b32_e32 v9, 0x100, v0
	v_cmp_gt_u32_e32 vcc_lo, s10, v9
	s_and_saveexec_b32 s1, vcc_lo
	s_cbranch_execz .LBB55_130
; %bb.129:
	v_lshlrev_b32_e32 v3, 2, v0
	s_mov_b32 s11, 0
	s_clause 0x1
	global_load_dword v4, v3, s[2:3] offset:1024
	global_load_dword v3, v3, s[8:9] offset:1024
	s_waitcnt vmcnt(0)
	v_cmp_ne_u32_e64 s0, v4, v3
	v_mov_b32_e32 v4, s11
	v_cndmask_b32_e64 v3, 0, 1, s0
.LBB55_130:
	s_or_b32 exec_lo, exec_lo, s1
	v_or_b32_e32 v9, 0x200, v0
	v_cmp_gt_u32_e64 s0, s10, v9
	s_and_saveexec_b32 s11, s0
	s_cbranch_execz .LBB55_132
; %bb.131:
	v_lshlrev_b32_e32 v5, 2, v9
	s_mov_b32 s12, 0
	s_clause 0x1
	global_load_dword v6, v5, s[2:3]
	global_load_dword v5, v5, s[8:9]
	s_waitcnt vmcnt(0)
	v_cmp_ne_u32_e64 s1, v6, v5
	v_mov_b32_e32 v6, s12
	v_cndmask_b32_e64 v5, 0, 1, s1
.LBB55_132:
	s_or_b32 exec_lo, exec_lo, s11
	v_or_b32_e32 v9, 0x300, v0
	v_cmp_gt_u32_e64 s1, s10, v9
	s_and_saveexec_b32 s11, s1
	s_cbranch_execz .LBB55_134
; %bb.133:
	v_lshlrev_b32_e32 v7, 2, v9
	s_clause 0x1
	global_load_dword v8, v7, s[2:3]
	global_load_dword v7, v7, s[8:9]
	s_mov_b32 s3, 0
	s_waitcnt vmcnt(0)
	v_cmp_ne_u32_e64 s2, v8, v7
	v_mov_b32_e32 v8, s3
	v_cndmask_b32_e64 v7, 0, 1, s2
.LBB55_134:
	s_or_b32 exec_lo, exec_lo, s11
	v_cndmask_b32_e32 v9, 0, v3, vcc_lo
	v_cndmask_b32_e32 v4, 0, v4, vcc_lo
	v_mbcnt_lo_u32_b32 v3, -1, 0
	v_cndmask_b32_e64 v5, 0, v5, s0
	v_add_co_u32 v1, vcc_lo, v9, v1
	v_add_co_ci_u32_e64 v2, null, v4, v2, vcc_lo
	v_cmp_ne_u32_e32 vcc_lo, 31, v3
	v_cndmask_b32_e64 v4, 0, v6, s0
	v_cndmask_b32_e64 v6, 0, v7, s1
	s_min_u32 s0, s10, 0x100
	v_add_co_ci_u32_e64 v7, null, 0, v3, vcc_lo
	v_add_co_u32 v1, vcc_lo, v1, v5
	v_add_co_ci_u32_e64 v2, null, v2, v4, vcc_lo
	v_cndmask_b32_e64 v4, 0, v8, s1
	v_add_co_u32 v1, vcc_lo, v1, v6
	v_lshlrev_b32_e32 v5, 2, v7
	v_add_nc_u32_e32 v6, 1, v3
	v_add_co_ci_u32_e64 v2, null, v2, v4, vcc_lo
	v_and_b32_e32 v4, 0xe0, v0
	ds_bpermute_b32 v7, v5, v1
	ds_bpermute_b32 v5, v5, v2
	v_sub_nc_u32_e64 v4, s0, v4 clamp
	v_cmp_lt_u32_e32 vcc_lo, v6, v4
	v_mov_b32_e32 v6, v1
	s_and_saveexec_b32 s1, vcc_lo
	s_cbranch_execz .LBB55_136
; %bb.135:
	s_waitcnt lgkmcnt(1)
	v_add_co_u32 v6, vcc_lo, v1, v7
	v_add_co_ci_u32_e64 v2, null, 0, v2, vcc_lo
	v_add_co_u32 v1, vcc_lo, v6, 0
	s_waitcnt lgkmcnt(0)
	v_add_co_ci_u32_e64 v2, null, v2, v5, vcc_lo
.LBB55_136:
	s_or_b32 exec_lo, exec_lo, s1
	v_cmp_gt_u32_e32 vcc_lo, 30, v3
	v_add_nc_u32_e32 v8, 2, v3
	s_mov_b32 s1, exec_lo
	s_waitcnt lgkmcnt(0)
	v_cndmask_b32_e64 v5, 0, 2, vcc_lo
	v_add_lshl_u32 v5, v5, v3, 2
	ds_bpermute_b32 v7, v5, v6
	ds_bpermute_b32 v5, v5, v2
	v_cmpx_lt_u32_e64 v8, v4
	s_cbranch_execz .LBB55_138
; %bb.137:
	s_waitcnt lgkmcnt(1)
	v_add_co_u32 v6, vcc_lo, v1, v7
	v_add_co_ci_u32_e64 v2, null, 0, v2, vcc_lo
	v_add_co_u32 v1, vcc_lo, 0, v6
	s_waitcnt lgkmcnt(0)
	v_add_co_ci_u32_e64 v2, null, v5, v2, vcc_lo
.LBB55_138:
	s_or_b32 exec_lo, exec_lo, s1
	v_cmp_gt_u32_e32 vcc_lo, 28, v3
	v_add_nc_u32_e32 v8, 4, v3
	s_mov_b32 s1, exec_lo
	s_waitcnt lgkmcnt(0)
	v_cndmask_b32_e64 v5, 0, 4, vcc_lo
	v_add_lshl_u32 v5, v5, v3, 2
	ds_bpermute_b32 v7, v5, v6
	ds_bpermute_b32 v5, v5, v2
	v_cmpx_lt_u32_e64 v8, v4
	;; [unrolled: 19-line block ×3, first 2 shown]
	s_cbranch_execz .LBB55_142
; %bb.141:
	s_waitcnt lgkmcnt(1)
	v_add_co_u32 v6, vcc_lo, v1, v7
	v_add_co_ci_u32_e64 v2, null, 0, v2, vcc_lo
	v_add_co_u32 v1, vcc_lo, 0, v6
	s_waitcnt lgkmcnt(0)
	v_add_co_ci_u32_e64 v2, null, v5, v2, vcc_lo
.LBB55_142:
	s_or_b32 exec_lo, exec_lo, s1
	s_waitcnt lgkmcnt(0)
	v_lshlrev_b32_e32 v5, 2, v3
	s_mov_b32 s1, exec_lo
	v_or_b32_e32 v8, 64, v5
	ds_bpermute_b32 v7, v8, v6
	ds_bpermute_b32 v6, v8, v2
	v_add_nc_u32_e32 v8, 16, v3
	v_cmpx_lt_u32_e64 v8, v4
	s_cbranch_execz .LBB55_144
; %bb.143:
	s_waitcnt lgkmcnt(1)
	v_add_co_u32 v1, vcc_lo, v1, v7
	v_add_co_ci_u32_e64 v2, null, 0, v2, vcc_lo
	v_add_co_u32 v1, vcc_lo, v1, 0
	s_waitcnt lgkmcnt(0)
	v_add_co_ci_u32_e64 v2, null, v2, v6, vcc_lo
.LBB55_144:
	s_or_b32 exec_lo, exec_lo, s1
	s_mov_b32 s1, exec_lo
	v_cmpx_eq_u32_e32 0, v3
; %bb.145:
	v_lshrrev_b32_e32 v4, 2, v0
	v_and_b32_e32 v4, 56, v4
	ds_write_b64 v4, v[1:2] offset:320
; %bb.146:
	s_or_b32 exec_lo, exec_lo, s1
	s_mov_b32 s1, exec_lo
	s_waitcnt lgkmcnt(0)
	s_barrier
	buffer_gl0_inv
	v_cmpx_gt_u32_e32 8, v0
	s_cbranch_execz .LBB55_154
; %bb.147:
	v_lshlrev_b32_e32 v1, 3, v3
	v_and_b32_e32 v4, 7, v3
	s_add_i32 s0, s0, 31
	s_lshr_b32 s0, s0, 5
	ds_read_b64 v[1:2], v1 offset:320
	v_cmp_ne_u32_e32 vcc_lo, 7, v4
	v_add_co_ci_u32_e64 v6, null, 0, v3, vcc_lo
	v_lshlrev_b32_e32 v6, 2, v6
	s_waitcnt lgkmcnt(0)
	ds_bpermute_b32 v8, v6, v1
	ds_bpermute_b32 v7, v6, v2
	v_add_nc_u32_e32 v6, 1, v4
	v_cmp_gt_u32_e32 vcc_lo, s0, v6
	v_mov_b32_e32 v6, v1
	s_and_saveexec_b32 s2, vcc_lo
	s_cbranch_execz .LBB55_149
; %bb.148:
	s_waitcnt lgkmcnt(1)
	v_add_co_u32 v6, vcc_lo, v1, v8
	v_add_co_ci_u32_e64 v2, null, 0, v2, vcc_lo
	v_add_co_u32 v1, vcc_lo, 0, v6
	s_waitcnt lgkmcnt(0)
	v_add_co_ci_u32_e64 v2, null, v7, v2, vcc_lo
.LBB55_149:
	s_or_b32 exec_lo, exec_lo, s2
	v_cmp_gt_u32_e32 vcc_lo, 6, v4
	s_waitcnt lgkmcnt(1)
	v_add_nc_u32_e32 v8, 2, v4
	s_mov_b32 s2, exec_lo
	s_waitcnt lgkmcnt(0)
	v_cndmask_b32_e64 v7, 0, 2, vcc_lo
	v_add_lshl_u32 v3, v7, v3, 2
	ds_bpermute_b32 v7, v3, v6
	ds_bpermute_b32 v3, v3, v2
	v_cmpx_gt_u32_e64 s0, v8
	s_cbranch_execz .LBB55_151
; %bb.150:
	s_waitcnt lgkmcnt(1)
	v_add_co_u32 v6, vcc_lo, v1, v7
	v_add_co_ci_u32_e64 v2, null, 0, v2, vcc_lo
	v_add_co_u32 v1, vcc_lo, 0, v6
	s_waitcnt lgkmcnt(0)
	v_add_co_ci_u32_e64 v2, null, v3, v2, vcc_lo
.LBB55_151:
	s_or_b32 exec_lo, exec_lo, s2
	s_waitcnt lgkmcnt(0)
	v_or_b32_e32 v3, 16, v5
	v_add_nc_u32_e32 v4, 4, v4
	ds_bpermute_b32 v5, v3, v6
	ds_bpermute_b32 v3, v3, v2
	v_cmp_gt_u32_e32 vcc_lo, s0, v4
	s_and_saveexec_b32 s0, vcc_lo
	s_cbranch_execz .LBB55_153
; %bb.152:
	s_waitcnt lgkmcnt(1)
	v_add_co_u32 v1, vcc_lo, v1, v5
	v_add_co_ci_u32_e64 v2, null, 0, v2, vcc_lo
	v_add_co_u32 v1, vcc_lo, v1, 0
	s_waitcnt lgkmcnt(0)
	v_add_co_ci_u32_e64 v2, null, v2, v3, vcc_lo
.LBB55_153:
	s_or_b32 exec_lo, exec_lo, s0
.LBB55_154:
	s_or_b32 exec_lo, exec_lo, s1
.LBB55_155:
	s_waitcnt lgkmcnt(0)
	v_mov_b32_e32 v3, s6
	v_cmp_eq_u32_e64 s0, 0, v0
	v_mov_b32_e32 v4, s7
.LBB55_156:
	s_branch .LBB55_226
.LBB55_157:
	s_cmp_gt_i32 s30, 1
	s_cbranch_scc0 .LBB55_165
; %bb.158:
	s_cmp_eq_u32 s30, 2
                                        ; implicit-def: $vgpr1_vgpr2
                                        ; implicit-def: $vgpr3_vgpr4
	s_cbranch_scc0 .LBB55_166
; %bb.159:
	s_mov_b32 s7, 0
	s_lshl_b32 s8, s6, 9
	s_mov_b32 s9, s7
	s_lshr_b64 s[10:11], s[20:21], 9
	s_lshl_b64 s[2:3], s[8:9], 2
	s_add_u32 s0, s24, s2
	s_addc_u32 s1, s25, s3
	s_add_u32 s2, s26, s2
	s_addc_u32 s3, s27, s3
	s_cmp_lg_u64 s[10:11], s[6:7]
	s_cbranch_scc0 .LBB55_167
; %bb.160:
	v_lshlrev_b32_e32 v1, 2, v0
	s_clause 0x3
	global_load_dword v2, v1, s[0:1]
	global_load_dword v3, v1, s[2:3]
	global_load_dword v4, v1, s[2:3] offset:1024
	global_load_dword v1, v1, s[0:1] offset:1024
	s_waitcnt vmcnt(2)
	v_cmp_ne_u32_e32 vcc_lo, v2, v3
	v_mov_b32_e32 v3, 0
	v_cndmask_b32_e64 v2, 0, 1, vcc_lo
	s_waitcnt vmcnt(0)
	v_cmp_ne_u32_e32 vcc_lo, v1, v4
	v_add_co_ci_u32_e64 v1, null, 0, v2, vcc_lo
	v_mov_b32_dpp v2, v1 quad_perm:[1,0,3,2] row_mask:0xf bank_mask:0xf
	v_add_co_u32 v1, s9, v1, v2
	v_mov_b32_dpp v2, v3 quad_perm:[1,0,3,2] row_mask:0xf bank_mask:0xf
	v_add_co_ci_u32_e64 v4, null, 0, 0, s9
	v_mov_b32_dpp v5, v1 quad_perm:[2,3,0,1] row_mask:0xf bank_mask:0xf
	v_add_co_u32 v1, vcc_lo, 0, v1
	v_add_co_ci_u32_e64 v2, null, v2, v4, vcc_lo
	s_mov_b32 s9, exec_lo
	v_add_co_u32 v1, vcc_lo, v1, v5
	v_mov_b32_dpp v4, v2 quad_perm:[2,3,0,1] row_mask:0xf bank_mask:0xf
	v_add_co_ci_u32_e64 v2, null, 0, v2, vcc_lo
	v_mov_b32_dpp v5, v1 row_ror:4 row_mask:0xf bank_mask:0xf
	v_add_co_u32 v1, vcc_lo, v1, 0
	v_add_co_ci_u32_e64 v2, null, v2, v4, vcc_lo
	v_add_co_u32 v1, vcc_lo, v1, v5
	v_mov_b32_dpp v4, v2 row_ror:4 row_mask:0xf bank_mask:0xf
	v_add_co_ci_u32_e64 v2, null, 0, v2, vcc_lo
	v_mov_b32_dpp v5, v1 row_ror:8 row_mask:0xf bank_mask:0xf
	v_add_co_u32 v1, vcc_lo, v1, 0
	v_add_co_ci_u32_e64 v2, null, v2, v4, vcc_lo
	v_add_co_u32 v1, vcc_lo, v1, v5
	v_mov_b32_dpp v4, v2 row_ror:8 row_mask:0xf bank_mask:0xf
	v_add_co_ci_u32_e64 v2, null, 0, v2, vcc_lo
	ds_swizzle_b32 v5, v1 offset:swizzle(BROADCAST,32,15)
	v_add_co_u32 v1, vcc_lo, v1, 0
	v_add_co_ci_u32_e64 v2, null, v2, v4, vcc_lo
	ds_swizzle_b32 v4, v2 offset:swizzle(BROADCAST,32,15)
	s_waitcnt lgkmcnt(1)
	v_add_co_u32 v1, vcc_lo, v1, v5
	v_add_co_ci_u32_e64 v2, null, 0, v2, vcc_lo
	ds_bpermute_b32 v1, v3, v1 offset:124
	s_waitcnt lgkmcnt(1)
	v_add_nc_u32_e32 v2, v4, v2
	ds_bpermute_b32 v2, v3, v2 offset:124
	v_mbcnt_lo_u32_b32 v3, -1, 0
	v_cmpx_eq_u32_e32 0, v3
	s_cbranch_execz .LBB55_162
; %bb.161:
	v_lshrrev_b32_e32 v4, 2, v0
	v_and_b32_e32 v4, 56, v4
	s_waitcnt lgkmcnt(0)
	ds_write_b64 v4, v[1:2] offset:128
.LBB55_162:
	s_or_b32 exec_lo, exec_lo, s9
	s_mov_b32 s9, exec_lo
	s_waitcnt lgkmcnt(0)
	s_barrier
	buffer_gl0_inv
	v_cmpx_gt_u32_e32 32, v0
	s_cbranch_execz .LBB55_164
; %bb.163:
	v_and_b32_e32 v4, 7, v3
	v_lshlrev_b32_e32 v1, 3, v4
	v_cmp_ne_u32_e32 vcc_lo, 7, v4
	ds_read_b64 v[1:2], v1 offset:128
	v_add_co_ci_u32_e64 v5, null, 0, v3, vcc_lo
	v_cmp_gt_u32_e32 vcc_lo, 6, v4
	v_lshlrev_b32_e32 v5, 2, v5
	v_cndmask_b32_e64 v4, 0, 2, vcc_lo
	v_add_lshl_u32 v4, v4, v3, 2
	v_lshlrev_b32_e32 v3, 2, v3
	v_or_b32_e32 v3, 16, v3
	s_waitcnt lgkmcnt(0)
	ds_bpermute_b32 v6, v5, v1
	ds_bpermute_b32 v5, v5, v2
	s_waitcnt lgkmcnt(1)
	v_add_co_u32 v1, vcc_lo, v1, v6
	v_add_co_ci_u32_e64 v2, null, 0, v2, vcc_lo
	ds_bpermute_b32 v6, v4, v1
	v_add_co_u32 v1, vcc_lo, 0, v1
	s_waitcnt lgkmcnt(1)
	v_add_co_ci_u32_e64 v2, null, v5, v2, vcc_lo
	ds_bpermute_b32 v4, v4, v2
	s_waitcnt lgkmcnt(1)
	v_add_co_u32 v1, vcc_lo, v1, v6
	v_add_co_ci_u32_e64 v2, null, 0, v2, vcc_lo
	ds_bpermute_b32 v5, v3, v1
	v_add_co_u32 v1, vcc_lo, v1, 0
	s_waitcnt lgkmcnt(1)
	v_add_co_ci_u32_e64 v2, null, v2, v4, vcc_lo
	ds_bpermute_b32 v3, v3, v2
	s_waitcnt lgkmcnt(1)
	v_add_co_u32 v1, vcc_lo, v1, v5
	v_add_co_ci_u32_e64 v2, null, 0, v2, vcc_lo
	v_add_co_u32 v1, vcc_lo, v1, 0
	s_waitcnt lgkmcnt(0)
	v_add_co_ci_u32_e64 v2, null, v2, v3, vcc_lo
.LBB55_164:
	s_or_b32 exec_lo, exec_lo, s9
	s_branch .LBB55_193
.LBB55_165:
                                        ; implicit-def: $vgpr1_vgpr2
                                        ; implicit-def: $vgpr3_vgpr4
	s_cbranch_execnz .LBB55_194
	s_branch .LBB55_226
.LBB55_166:
	s_branch .LBB55_226
.LBB55_167:
                                        ; implicit-def: $vgpr1_vgpr2
	s_cbranch_execz .LBB55_193
; %bb.168:
	v_mov_b32_e32 v1, 0
	s_sub_i32 s8, s20, s8
	s_mov_b32 s9, exec_lo
	v_mov_b32_e32 v2, v1
	v_mov_b32_e32 v3, v1
	;; [unrolled: 1-line block ×3, first 2 shown]
	v_cmpx_gt_u32_e64 s8, v0
	s_cbranch_execz .LBB55_170
; %bb.169:
	v_lshlrev_b32_e32 v2, 2, v0
	v_mov_b32_e32 v5, v1
	v_mov_b32_e32 v4, v1
	s_clause 0x1
	global_load_dword v3, v2, s[0:1]
	global_load_dword v2, v2, s[2:3]
	s_waitcnt vmcnt(0)
	v_cmp_ne_u32_e32 vcc_lo, v3, v2
	v_mov_b32_e32 v3, v1
	v_cndmask_b32_e64 v2, 0, 1, vcc_lo
	v_and_b32_e32 v2, 0xffff, v2
	v_mov_b32_e32 v1, v2
	v_mov_b32_e32 v2, v3
	;; [unrolled: 1-line block ×4, first 2 shown]
.LBB55_170:
	s_or_b32 exec_lo, exec_lo, s9
	v_or_b32_e32 v5, 0x100, v0
	v_cmp_gt_u32_e32 vcc_lo, s8, v5
	s_and_saveexec_b32 s9, vcc_lo
	s_cbranch_execz .LBB55_172
; %bb.171:
	v_lshlrev_b32_e32 v3, 2, v0
	s_clause 0x1
	global_load_dword v4, v3, s[0:1] offset:1024
	global_load_dword v3, v3, s[2:3] offset:1024
	s_mov_b32 s1, 0
	s_waitcnt vmcnt(0)
	v_cmp_ne_u32_e64 s0, v4, v3
	v_mov_b32_e32 v4, s1
	v_cndmask_b32_e64 v3, 0, 1, s0
.LBB55_172:
	s_or_b32 exec_lo, exec_lo, s9
	v_mbcnt_lo_u32_b32 v5, -1, 0
	v_cndmask_b32_e32 v3, 0, v3, vcc_lo
	v_cndmask_b32_e32 v4, 0, v4, vcc_lo
	v_cmp_ne_u32_e64 s0, 31, v5
	v_add_co_u32 v1, vcc_lo, v3, v1
	v_add_co_ci_u32_e64 v2, null, v4, v2, vcc_lo
	v_add_co_ci_u32_e64 v6, null, 0, v5, s0
	v_and_b32_e32 v3, 0xe0, v0
	s_min_u32 s0, s8, 0x100
	v_lshlrev_b32_e32 v6, 2, v6
	v_sub_nc_u32_e64 v3, s0, v3 clamp
	ds_bpermute_b32 v7, v6, v1
	ds_bpermute_b32 v4, v6, v2
	v_add_nc_u32_e32 v6, 1, v5
	v_cmp_lt_u32_e32 vcc_lo, v6, v3
	v_mov_b32_e32 v6, v1
	s_and_saveexec_b32 s1, vcc_lo
	s_cbranch_execz .LBB55_174
; %bb.173:
	s_waitcnt lgkmcnt(1)
	v_add_co_u32 v6, vcc_lo, v1, v7
	v_add_co_ci_u32_e64 v2, null, 0, v2, vcc_lo
	v_add_co_u32 v1, vcc_lo, 0, v6
	s_waitcnt lgkmcnt(0)
	v_add_co_ci_u32_e64 v2, null, v4, v2, vcc_lo
.LBB55_174:
	s_or_b32 exec_lo, exec_lo, s1
	v_cmp_gt_u32_e32 vcc_lo, 30, v5
	v_add_nc_u32_e32 v8, 2, v5
	s_mov_b32 s1, exec_lo
	s_waitcnt lgkmcnt(0)
	v_cndmask_b32_e64 v4, 0, 2, vcc_lo
	v_add_lshl_u32 v4, v4, v5, 2
	ds_bpermute_b32 v7, v4, v6
	ds_bpermute_b32 v4, v4, v2
	v_cmpx_lt_u32_e64 v8, v3
	s_cbranch_execz .LBB55_176
; %bb.175:
	s_waitcnt lgkmcnt(1)
	v_add_co_u32 v6, vcc_lo, v1, v7
	v_add_co_ci_u32_e64 v2, null, 0, v2, vcc_lo
	v_add_co_u32 v1, vcc_lo, 0, v6
	s_waitcnt lgkmcnt(0)
	v_add_co_ci_u32_e64 v2, null, v4, v2, vcc_lo
.LBB55_176:
	s_or_b32 exec_lo, exec_lo, s1
	v_cmp_gt_u32_e32 vcc_lo, 28, v5
	v_add_nc_u32_e32 v8, 4, v5
	s_mov_b32 s1, exec_lo
	s_waitcnt lgkmcnt(0)
	v_cndmask_b32_e64 v4, 0, 4, vcc_lo
	v_add_lshl_u32 v4, v4, v5, 2
	ds_bpermute_b32 v7, v4, v6
	ds_bpermute_b32 v4, v4, v2
	v_cmpx_lt_u32_e64 v8, v3
	;; [unrolled: 19-line block ×3, first 2 shown]
	s_cbranch_execz .LBB55_180
; %bb.179:
	s_waitcnt lgkmcnt(1)
	v_add_co_u32 v6, vcc_lo, v1, v7
	v_add_co_ci_u32_e64 v2, null, 0, v2, vcc_lo
	v_add_co_u32 v1, vcc_lo, 0, v6
	s_waitcnt lgkmcnt(0)
	v_add_co_ci_u32_e64 v2, null, v4, v2, vcc_lo
.LBB55_180:
	s_or_b32 exec_lo, exec_lo, s1
	s_waitcnt lgkmcnt(0)
	v_lshlrev_b32_e32 v4, 2, v5
	s_mov_b32 s1, exec_lo
	v_or_b32_e32 v8, 64, v4
	ds_bpermute_b32 v7, v8, v6
	ds_bpermute_b32 v6, v8, v2
	v_add_nc_u32_e32 v8, 16, v5
	v_cmpx_lt_u32_e64 v8, v3
	s_cbranch_execz .LBB55_182
; %bb.181:
	s_waitcnt lgkmcnt(1)
	v_add_co_u32 v1, vcc_lo, v1, v7
	v_add_co_ci_u32_e64 v2, null, 0, v2, vcc_lo
	v_add_co_u32 v1, vcc_lo, v1, 0
	s_waitcnt lgkmcnt(0)
	v_add_co_ci_u32_e64 v2, null, v2, v6, vcc_lo
.LBB55_182:
	s_or_b32 exec_lo, exec_lo, s1
	s_mov_b32 s1, exec_lo
	v_cmpx_eq_u32_e32 0, v5
; %bb.183:
	v_lshrrev_b32_e32 v3, 2, v0
	v_and_b32_e32 v3, 56, v3
	ds_write_b64 v3, v[1:2] offset:320
; %bb.184:
	s_or_b32 exec_lo, exec_lo, s1
	s_mov_b32 s1, exec_lo
	s_waitcnt lgkmcnt(0)
	s_barrier
	buffer_gl0_inv
	v_cmpx_gt_u32_e32 8, v0
	s_cbranch_execz .LBB55_192
; %bb.185:
	v_lshlrev_b32_e32 v1, 3, v5
	v_and_b32_e32 v3, 7, v5
	s_add_i32 s0, s0, 31
	s_lshr_b32 s0, s0, 5
	ds_read_b64 v[1:2], v1 offset:320
	v_cmp_ne_u32_e32 vcc_lo, 7, v3
	v_add_co_ci_u32_e64 v6, null, 0, v5, vcc_lo
	v_lshlrev_b32_e32 v6, 2, v6
	s_waitcnt lgkmcnt(0)
	ds_bpermute_b32 v8, v6, v1
	ds_bpermute_b32 v7, v6, v2
	v_add_nc_u32_e32 v6, 1, v3
	v_cmp_gt_u32_e32 vcc_lo, s0, v6
	v_mov_b32_e32 v6, v1
	s_and_saveexec_b32 s2, vcc_lo
	s_cbranch_execz .LBB55_187
; %bb.186:
	s_waitcnt lgkmcnt(1)
	v_add_co_u32 v6, vcc_lo, v1, v8
	v_add_co_ci_u32_e64 v2, null, 0, v2, vcc_lo
	v_add_co_u32 v1, vcc_lo, 0, v6
	s_waitcnt lgkmcnt(0)
	v_add_co_ci_u32_e64 v2, null, v7, v2, vcc_lo
.LBB55_187:
	s_or_b32 exec_lo, exec_lo, s2
	v_cmp_gt_u32_e32 vcc_lo, 6, v3
	s_waitcnt lgkmcnt(1)
	v_add_nc_u32_e32 v8, 2, v3
	s_mov_b32 s2, exec_lo
	s_waitcnt lgkmcnt(0)
	v_cndmask_b32_e64 v7, 0, 2, vcc_lo
	v_add_lshl_u32 v5, v7, v5, 2
	ds_bpermute_b32 v7, v5, v6
	ds_bpermute_b32 v5, v5, v2
	v_cmpx_gt_u32_e64 s0, v8
	s_cbranch_execz .LBB55_189
; %bb.188:
	s_waitcnt lgkmcnt(1)
	v_add_co_u32 v6, vcc_lo, v1, v7
	v_add_co_ci_u32_e64 v2, null, 0, v2, vcc_lo
	v_add_co_u32 v1, vcc_lo, 0, v6
	s_waitcnt lgkmcnt(0)
	v_add_co_ci_u32_e64 v2, null, v5, v2, vcc_lo
.LBB55_189:
	s_or_b32 exec_lo, exec_lo, s2
	v_or_b32_e32 v4, 16, v4
	v_add_nc_u32_e32 v3, 4, v3
	s_waitcnt lgkmcnt(0)
	ds_bpermute_b32 v5, v4, v6
	ds_bpermute_b32 v4, v4, v2
	v_cmp_gt_u32_e32 vcc_lo, s0, v3
	s_and_saveexec_b32 s0, vcc_lo
	s_cbranch_execz .LBB55_191
; %bb.190:
	s_waitcnt lgkmcnt(1)
	v_add_co_u32 v1, vcc_lo, v1, v5
	v_add_co_ci_u32_e64 v2, null, 0, v2, vcc_lo
	v_add_co_u32 v1, vcc_lo, v1, 0
	s_waitcnt lgkmcnt(0)
	v_add_co_ci_u32_e64 v2, null, v2, v4, vcc_lo
.LBB55_191:
	s_or_b32 exec_lo, exec_lo, s0
.LBB55_192:
	s_or_b32 exec_lo, exec_lo, s1
.LBB55_193:
	s_waitcnt lgkmcnt(0)
	v_mov_b32_e32 v3, s6
	v_cmp_eq_u32_e64 s0, 0, v0
	v_mov_b32_e32 v4, s7
	s_branch .LBB55_226
.LBB55_194:
	s_cmp_eq_u32 s30, 1
                                        ; implicit-def: $vgpr1_vgpr2
                                        ; implicit-def: $vgpr3_vgpr4
	s_cbranch_scc0 .LBB55_226
; %bb.195:
	s_mov_b32 s1, 0
	v_mbcnt_lo_u32_b32 v3, -1, 0
	s_lshr_b64 s[2:3], s[20:21], 8
	s_mov_b32 s7, s1
	s_lshl_b32 s0, s6, 8
	s_cmp_lg_u64 s[2:3], s[6:7]
	s_cbranch_scc0 .LBB55_201
; %bb.196:
	s_lshl_b64 s[2:3], s[0:1], 2
	v_lshlrev_b32_e32 v1, 2, v0
	s_add_u32 s8, s24, s2
	s_addc_u32 s9, s25, s3
	s_add_u32 s2, s26, s2
	s_addc_u32 s3, s27, s3
	s_clause 0x1
	global_load_dword v2, v1, s[8:9]
	global_load_dword v1, v1, s[2:3]
	v_mov_b32_e32 v4, 0
	s_waitcnt vmcnt(0)
	v_cmp_ne_u32_e32 vcc_lo, v2, v1
	v_cndmask_b32_e64 v1, 0, 1, vcc_lo
	v_mov_b32_dpp v2, v1 quad_perm:[1,0,3,2] row_mask:0xf bank_mask:0xf
	v_add_co_u32 v1, s2, v2, v1
	v_mov_b32_dpp v2, v4 quad_perm:[1,0,3,2] row_mask:0xf bank_mask:0xf
	v_add_co_ci_u32_e64 v5, null, 0, 0, s2
	v_mov_b32_dpp v6, v1 quad_perm:[2,3,0,1] row_mask:0xf bank_mask:0xf
	v_add_co_u32 v1, vcc_lo, 0, v1
	v_add_co_ci_u32_e64 v2, null, v2, v5, vcc_lo
	s_mov_b32 s2, exec_lo
	v_add_co_u32 v1, vcc_lo, v1, v6
	v_mov_b32_dpp v5, v2 quad_perm:[2,3,0,1] row_mask:0xf bank_mask:0xf
	v_add_co_ci_u32_e64 v2, null, 0, v2, vcc_lo
	v_mov_b32_dpp v6, v1 row_ror:4 row_mask:0xf bank_mask:0xf
	v_add_co_u32 v1, vcc_lo, v1, 0
	v_add_co_ci_u32_e64 v2, null, v2, v5, vcc_lo
	v_add_co_u32 v1, vcc_lo, v1, v6
	v_mov_b32_dpp v5, v2 row_ror:4 row_mask:0xf bank_mask:0xf
	v_add_co_ci_u32_e64 v2, null, 0, v2, vcc_lo
	v_mov_b32_dpp v6, v1 row_ror:8 row_mask:0xf bank_mask:0xf
	v_add_co_u32 v1, vcc_lo, v1, 0
	v_add_co_ci_u32_e64 v2, null, v2, v5, vcc_lo
	v_add_co_u32 v1, vcc_lo, v1, v6
	v_mov_b32_dpp v5, v2 row_ror:8 row_mask:0xf bank_mask:0xf
	v_add_co_ci_u32_e64 v2, null, 0, v2, vcc_lo
	ds_swizzle_b32 v6, v1 offset:swizzle(BROADCAST,32,15)
	v_add_co_u32 v1, vcc_lo, v1, 0
	v_add_co_ci_u32_e64 v2, null, v2, v5, vcc_lo
	ds_swizzle_b32 v5, v2 offset:swizzle(BROADCAST,32,15)
	s_waitcnt lgkmcnt(1)
	v_add_co_u32 v1, vcc_lo, v1, v6
	v_add_co_ci_u32_e64 v2, null, 0, v2, vcc_lo
	ds_bpermute_b32 v1, v4, v1 offset:124
	s_waitcnt lgkmcnt(1)
	v_add_nc_u32_e32 v2, v5, v2
	ds_bpermute_b32 v2, v4, v2 offset:124
	v_cmpx_eq_u32_e32 0, v3
	s_cbranch_execz .LBB55_198
; %bb.197:
	v_lshrrev_b32_e32 v4, 2, v0
	v_and_b32_e32 v4, 56, v4
	s_waitcnt lgkmcnt(0)
	ds_write_b64 v4, v[1:2] offset:64
.LBB55_198:
	s_or_b32 exec_lo, exec_lo, s2
	s_mov_b32 s2, exec_lo
	s_waitcnt lgkmcnt(0)
	s_barrier
	buffer_gl0_inv
	v_cmpx_gt_u32_e32 32, v0
	s_cbranch_execz .LBB55_200
; %bb.199:
	v_and_b32_e32 v4, 7, v3
	v_lshlrev_b32_e32 v1, 3, v4
	v_cmp_ne_u32_e32 vcc_lo, 7, v4
	ds_read_b64 v[1:2], v1 offset:64
	v_add_co_ci_u32_e64 v5, null, 0, v3, vcc_lo
	v_cmp_gt_u32_e32 vcc_lo, 6, v4
	v_lshlrev_b32_e32 v5, 2, v5
	v_cndmask_b32_e64 v4, 0, 2, vcc_lo
	v_add_lshl_u32 v4, v4, v3, 2
	s_waitcnt lgkmcnt(0)
	ds_bpermute_b32 v6, v5, v1
	ds_bpermute_b32 v5, v5, v2
	s_waitcnt lgkmcnt(1)
	v_add_co_u32 v1, vcc_lo, v1, v6
	v_add_co_ci_u32_e64 v2, null, 0, v2, vcc_lo
	ds_bpermute_b32 v6, v4, v1
	v_add_co_u32 v1, vcc_lo, 0, v1
	s_waitcnt lgkmcnt(1)
	v_add_co_ci_u32_e64 v2, null, v5, v2, vcc_lo
	v_lshlrev_b32_e32 v5, 2, v3
	ds_bpermute_b32 v4, v4, v2
	v_or_b32_e32 v5, 16, v5
	s_waitcnt lgkmcnt(1)
	v_add_co_u32 v1, vcc_lo, v1, v6
	v_add_co_ci_u32_e64 v2, null, 0, v2, vcc_lo
	ds_bpermute_b32 v6, v5, v1
	v_add_co_u32 v1, vcc_lo, v1, 0
	s_waitcnt lgkmcnt(1)
	v_add_co_ci_u32_e64 v2, null, v2, v4, vcc_lo
	ds_bpermute_b32 v4, v5, v2
	s_waitcnt lgkmcnt(1)
	v_add_co_u32 v1, vcc_lo, v1, v6
	v_add_co_ci_u32_e64 v2, null, 0, v2, vcc_lo
	v_add_co_u32 v1, vcc_lo, v1, 0
	s_waitcnt lgkmcnt(0)
	v_add_co_ci_u32_e64 v2, null, v2, v4, vcc_lo
.LBB55_200:
	s_or_b32 exec_lo, exec_lo, s2
	s_branch .LBB55_225
.LBB55_201:
                                        ; implicit-def: $vgpr1_vgpr2
	s_cbranch_execz .LBB55_225
; %bb.202:
	s_sub_i32 s2, s20, s0
	s_mov_b32 s3, exec_lo
                                        ; implicit-def: $vgpr1_vgpr2
	v_cmpx_gt_u32_e64 s2, v0
	s_cbranch_execz .LBB55_204
; %bb.203:
	s_lshl_b64 s[0:1], s[0:1], 2
	v_lshlrev_b32_e32 v1, 2, v0
	s_add_u32 s8, s26, s0
	s_addc_u32 s9, s27, s1
	s_add_u32 s0, s24, s0
	s_addc_u32 s1, s25, s1
	s_clause 0x1
	global_load_dword v2, v1, s[0:1]
	global_load_dword v1, v1, s[8:9]
	s_mov_b32 s0, 0
	s_waitcnt vmcnt(0)
	v_cmp_ne_u32_e32 vcc_lo, v2, v1
	v_mov_b32_e32 v2, s0
	v_cndmask_b32_e64 v1, 0, 1, vcc_lo
.LBB55_204:
	s_or_b32 exec_lo, exec_lo, s3
	v_cmp_ne_u32_e32 vcc_lo, 31, v3
	s_min_u32 s0, s2, 0x100
	v_add_nc_u32_e32 v6, 1, v3
	v_add_co_ci_u32_e64 v4, null, 0, v3, vcc_lo
	v_lshlrev_b32_e32 v4, 2, v4
	ds_bpermute_b32 v7, v4, v1
	ds_bpermute_b32 v5, v4, v2
	v_and_b32_e32 v4, 0xe0, v0
	v_sub_nc_u32_e64 v4, s0, v4 clamp
	v_cmp_lt_u32_e32 vcc_lo, v6, v4
	v_mov_b32_e32 v6, v1
	s_and_saveexec_b32 s1, vcc_lo
	s_cbranch_execz .LBB55_206
; %bb.205:
	s_waitcnt lgkmcnt(1)
	v_add_co_u32 v6, vcc_lo, v1, v7
	v_add_co_ci_u32_e64 v2, null, 0, v2, vcc_lo
	v_add_co_u32 v1, vcc_lo, 0, v6
	s_waitcnt lgkmcnt(0)
	v_add_co_ci_u32_e64 v2, null, v5, v2, vcc_lo
.LBB55_206:
	s_or_b32 exec_lo, exec_lo, s1
	v_cmp_gt_u32_e32 vcc_lo, 30, v3
	v_add_nc_u32_e32 v8, 2, v3
	s_mov_b32 s1, exec_lo
	s_waitcnt lgkmcnt(0)
	v_cndmask_b32_e64 v5, 0, 2, vcc_lo
	v_add_lshl_u32 v5, v5, v3, 2
	ds_bpermute_b32 v7, v5, v6
	ds_bpermute_b32 v5, v5, v2
	v_cmpx_lt_u32_e64 v8, v4
	s_cbranch_execz .LBB55_208
; %bb.207:
	s_waitcnt lgkmcnt(1)
	v_add_co_u32 v6, vcc_lo, v1, v7
	v_add_co_ci_u32_e64 v2, null, 0, v2, vcc_lo
	v_add_co_u32 v1, vcc_lo, 0, v6
	s_waitcnt lgkmcnt(0)
	v_add_co_ci_u32_e64 v2, null, v5, v2, vcc_lo
.LBB55_208:
	s_or_b32 exec_lo, exec_lo, s1
	v_cmp_gt_u32_e32 vcc_lo, 28, v3
	v_add_nc_u32_e32 v8, 4, v3
	s_mov_b32 s1, exec_lo
	s_waitcnt lgkmcnt(0)
	v_cndmask_b32_e64 v5, 0, 4, vcc_lo
	v_add_lshl_u32 v5, v5, v3, 2
	ds_bpermute_b32 v7, v5, v6
	ds_bpermute_b32 v5, v5, v2
	v_cmpx_lt_u32_e64 v8, v4
	;; [unrolled: 19-line block ×3, first 2 shown]
	s_cbranch_execz .LBB55_212
; %bb.211:
	s_waitcnt lgkmcnt(1)
	v_add_co_u32 v6, vcc_lo, v1, v7
	v_add_co_ci_u32_e64 v2, null, 0, v2, vcc_lo
	v_add_co_u32 v1, vcc_lo, 0, v6
	s_waitcnt lgkmcnt(0)
	v_add_co_ci_u32_e64 v2, null, v5, v2, vcc_lo
.LBB55_212:
	s_or_b32 exec_lo, exec_lo, s1
	s_waitcnt lgkmcnt(0)
	v_lshlrev_b32_e32 v5, 2, v3
	s_mov_b32 s1, exec_lo
	v_or_b32_e32 v8, 64, v5
	ds_bpermute_b32 v7, v8, v6
	ds_bpermute_b32 v6, v8, v2
	v_add_nc_u32_e32 v8, 16, v3
	v_cmpx_lt_u32_e64 v8, v4
	s_cbranch_execz .LBB55_214
; %bb.213:
	s_waitcnt lgkmcnt(1)
	v_add_co_u32 v1, vcc_lo, v1, v7
	v_add_co_ci_u32_e64 v2, null, 0, v2, vcc_lo
	v_add_co_u32 v1, vcc_lo, v1, 0
	s_waitcnt lgkmcnt(0)
	v_add_co_ci_u32_e64 v2, null, v2, v6, vcc_lo
.LBB55_214:
	s_or_b32 exec_lo, exec_lo, s1
	s_mov_b32 s1, exec_lo
	v_cmpx_eq_u32_e32 0, v3
; %bb.215:
	v_lshrrev_b32_e32 v4, 2, v0
	v_and_b32_e32 v4, 56, v4
	ds_write_b64 v4, v[1:2] offset:320
; %bb.216:
	s_or_b32 exec_lo, exec_lo, s1
	s_mov_b32 s1, exec_lo
	s_waitcnt lgkmcnt(0)
	s_barrier
	buffer_gl0_inv
	v_cmpx_gt_u32_e32 8, v0
	s_cbranch_execz .LBB55_224
; %bb.217:
	v_lshlrev_b32_e32 v1, 3, v3
	v_and_b32_e32 v4, 7, v3
	s_add_i32 s0, s0, 31
	s_lshr_b32 s0, s0, 5
	ds_read_b64 v[1:2], v1 offset:320
	v_cmp_ne_u32_e32 vcc_lo, 7, v4
	v_add_co_ci_u32_e64 v6, null, 0, v3, vcc_lo
	v_lshlrev_b32_e32 v6, 2, v6
	s_waitcnt lgkmcnt(0)
	ds_bpermute_b32 v8, v6, v1
	ds_bpermute_b32 v7, v6, v2
	v_add_nc_u32_e32 v6, 1, v4
	v_cmp_gt_u32_e32 vcc_lo, s0, v6
	v_mov_b32_e32 v6, v1
	s_and_saveexec_b32 s2, vcc_lo
	s_cbranch_execz .LBB55_219
; %bb.218:
	s_waitcnt lgkmcnt(1)
	v_add_co_u32 v6, vcc_lo, v1, v8
	v_add_co_ci_u32_e64 v2, null, 0, v2, vcc_lo
	v_add_co_u32 v1, vcc_lo, 0, v6
	s_waitcnt lgkmcnt(0)
	v_add_co_ci_u32_e64 v2, null, v7, v2, vcc_lo
.LBB55_219:
	s_or_b32 exec_lo, exec_lo, s2
	v_cmp_gt_u32_e32 vcc_lo, 6, v4
	s_waitcnt lgkmcnt(1)
	v_add_nc_u32_e32 v8, 2, v4
	s_mov_b32 s2, exec_lo
	s_waitcnt lgkmcnt(0)
	v_cndmask_b32_e64 v7, 0, 2, vcc_lo
	v_add_lshl_u32 v3, v7, v3, 2
	ds_bpermute_b32 v7, v3, v6
	ds_bpermute_b32 v3, v3, v2
	v_cmpx_gt_u32_e64 s0, v8
	s_cbranch_execz .LBB55_221
; %bb.220:
	s_waitcnt lgkmcnt(1)
	v_add_co_u32 v6, vcc_lo, v1, v7
	v_add_co_ci_u32_e64 v2, null, 0, v2, vcc_lo
	v_add_co_u32 v1, vcc_lo, 0, v6
	s_waitcnt lgkmcnt(0)
	v_add_co_ci_u32_e64 v2, null, v3, v2, vcc_lo
.LBB55_221:
	s_or_b32 exec_lo, exec_lo, s2
	s_waitcnt lgkmcnt(0)
	v_or_b32_e32 v3, 16, v5
	v_add_nc_u32_e32 v4, 4, v4
	ds_bpermute_b32 v5, v3, v6
	ds_bpermute_b32 v3, v3, v2
	v_cmp_gt_u32_e32 vcc_lo, s0, v4
	s_and_saveexec_b32 s0, vcc_lo
	s_cbranch_execz .LBB55_223
; %bb.222:
	s_waitcnt lgkmcnt(1)
	v_add_co_u32 v1, vcc_lo, v1, v5
	v_add_co_ci_u32_e64 v2, null, 0, v2, vcc_lo
	v_add_co_u32 v1, vcc_lo, v1, 0
	s_waitcnt lgkmcnt(0)
	v_add_co_ci_u32_e64 v2, null, v2, v3, vcc_lo
.LBB55_223:
	s_or_b32 exec_lo, exec_lo, s0
.LBB55_224:
	s_or_b32 exec_lo, exec_lo, s1
.LBB55_225:
	s_waitcnt lgkmcnt(0)
	v_mov_b32_e32 v3, s6
	v_cmp_eq_u32_e64 s0, 0, v0
	v_mov_b32_e32 v4, s7
.LBB55_226:
	s_and_saveexec_b32 s1, s0
	s_cbranch_execz .LBB55_228
; %bb.227:
	s_load_dwordx2 s[0:1], s[4:5], 0x30
	s_cmp_lg_u64 s[20:21], 0
	v_lshlrev_b64 v[3:4], 3, v[3:4]
	s_cselect_b32 vcc_lo, -1, 0
	v_cndmask_b32_e32 v5, 0, v2, vcc_lo
	v_cndmask_b32_e32 v2, 0, v1, vcc_lo
	v_add_co_u32 v0, vcc_lo, s22, v3
	v_add_co_ci_u32_e64 v1, null, s23, v4, vcc_lo
	s_waitcnt lgkmcnt(0)
	v_add_co_u32 v2, vcc_lo, v2, s0
	v_add_co_ci_u32_e64 v3, null, s1, v5, vcc_lo
	global_store_dwordx2 v[0:1], v[2:3], off
.LBB55_228:
	s_endpgm
	.section	.rodata,"a",@progbits
	.p2align	6, 0x0
	.amdhsa_kernel _ZN7rocprim17ROCPRIM_400000_NS6detail17trampoline_kernelINS0_14default_configENS1_22reduce_config_selectorImEEZNS1_11reduce_implILb1ES3_N6thrust23THRUST_200600_302600_NS11hip_rocprim35transform_pair_of_input_iterators_tImNS8_6detail15normal_iteratorINS8_10device_ptrIiEEEESF_NS8_12not_equal_toIiEEEEPmmNS8_4plusImEEEE10hipError_tPvRmT1_T2_T3_mT4_P12ihipStream_tbEUlT_E1_NS1_11comp_targetILNS1_3genE8ELNS1_11target_archE1030ELNS1_3gpuE2ELNS1_3repE0EEENS1_30default_config_static_selectorELNS0_4arch9wavefront6targetE0EEEvSP_
		.amdhsa_group_segment_fixed_size 384
		.amdhsa_private_segment_fixed_size 0
		.amdhsa_kernarg_size 64
		.amdhsa_user_sgpr_count 6
		.amdhsa_user_sgpr_private_segment_buffer 1
		.amdhsa_user_sgpr_dispatch_ptr 0
		.amdhsa_user_sgpr_queue_ptr 0
		.amdhsa_user_sgpr_kernarg_segment_ptr 1
		.amdhsa_user_sgpr_dispatch_id 0
		.amdhsa_user_sgpr_flat_scratch_init 0
		.amdhsa_user_sgpr_private_segment_size 0
		.amdhsa_wavefront_size32 1
		.amdhsa_uses_dynamic_stack 0
		.amdhsa_system_sgpr_private_segment_wavefront_offset 0
		.amdhsa_system_sgpr_workgroup_id_x 1
		.amdhsa_system_sgpr_workgroup_id_y 0
		.amdhsa_system_sgpr_workgroup_id_z 0
		.amdhsa_system_sgpr_workgroup_info 0
		.amdhsa_system_vgpr_workitem_id 0
		.amdhsa_next_free_vgpr 38
		.amdhsa_next_free_sgpr 36
		.amdhsa_reserve_vcc 1
		.amdhsa_reserve_flat_scratch 0
		.amdhsa_float_round_mode_32 0
		.amdhsa_float_round_mode_16_64 0
		.amdhsa_float_denorm_mode_32 3
		.amdhsa_float_denorm_mode_16_64 3
		.amdhsa_dx10_clamp 1
		.amdhsa_ieee_mode 1
		.amdhsa_fp16_overflow 0
		.amdhsa_workgroup_processor_mode 1
		.amdhsa_memory_ordered 1
		.amdhsa_forward_progress 1
		.amdhsa_shared_vgpr_count 0
		.amdhsa_exception_fp_ieee_invalid_op 0
		.amdhsa_exception_fp_denorm_src 0
		.amdhsa_exception_fp_ieee_div_zero 0
		.amdhsa_exception_fp_ieee_overflow 0
		.amdhsa_exception_fp_ieee_underflow 0
		.amdhsa_exception_fp_ieee_inexact 0
		.amdhsa_exception_int_div_zero 0
	.end_amdhsa_kernel
	.section	.text._ZN7rocprim17ROCPRIM_400000_NS6detail17trampoline_kernelINS0_14default_configENS1_22reduce_config_selectorImEEZNS1_11reduce_implILb1ES3_N6thrust23THRUST_200600_302600_NS11hip_rocprim35transform_pair_of_input_iterators_tImNS8_6detail15normal_iteratorINS8_10device_ptrIiEEEESF_NS8_12not_equal_toIiEEEEPmmNS8_4plusImEEEE10hipError_tPvRmT1_T2_T3_mT4_P12ihipStream_tbEUlT_E1_NS1_11comp_targetILNS1_3genE8ELNS1_11target_archE1030ELNS1_3gpuE2ELNS1_3repE0EEENS1_30default_config_static_selectorELNS0_4arch9wavefront6targetE0EEEvSP_,"axG",@progbits,_ZN7rocprim17ROCPRIM_400000_NS6detail17trampoline_kernelINS0_14default_configENS1_22reduce_config_selectorImEEZNS1_11reduce_implILb1ES3_N6thrust23THRUST_200600_302600_NS11hip_rocprim35transform_pair_of_input_iterators_tImNS8_6detail15normal_iteratorINS8_10device_ptrIiEEEESF_NS8_12not_equal_toIiEEEEPmmNS8_4plusImEEEE10hipError_tPvRmT1_T2_T3_mT4_P12ihipStream_tbEUlT_E1_NS1_11comp_targetILNS1_3genE8ELNS1_11target_archE1030ELNS1_3gpuE2ELNS1_3repE0EEENS1_30default_config_static_selectorELNS0_4arch9wavefront6targetE0EEEvSP_,comdat
.Lfunc_end55:
	.size	_ZN7rocprim17ROCPRIM_400000_NS6detail17trampoline_kernelINS0_14default_configENS1_22reduce_config_selectorImEEZNS1_11reduce_implILb1ES3_N6thrust23THRUST_200600_302600_NS11hip_rocprim35transform_pair_of_input_iterators_tImNS8_6detail15normal_iteratorINS8_10device_ptrIiEEEESF_NS8_12not_equal_toIiEEEEPmmNS8_4plusImEEEE10hipError_tPvRmT1_T2_T3_mT4_P12ihipStream_tbEUlT_E1_NS1_11comp_targetILNS1_3genE8ELNS1_11target_archE1030ELNS1_3gpuE2ELNS1_3repE0EEENS1_30default_config_static_selectorELNS0_4arch9wavefront6targetE0EEEvSP_, .Lfunc_end55-_ZN7rocprim17ROCPRIM_400000_NS6detail17trampoline_kernelINS0_14default_configENS1_22reduce_config_selectorImEEZNS1_11reduce_implILb1ES3_N6thrust23THRUST_200600_302600_NS11hip_rocprim35transform_pair_of_input_iterators_tImNS8_6detail15normal_iteratorINS8_10device_ptrIiEEEESF_NS8_12not_equal_toIiEEEEPmmNS8_4plusImEEEE10hipError_tPvRmT1_T2_T3_mT4_P12ihipStream_tbEUlT_E1_NS1_11comp_targetILNS1_3genE8ELNS1_11target_archE1030ELNS1_3gpuE2ELNS1_3repE0EEENS1_30default_config_static_selectorELNS0_4arch9wavefront6targetE0EEEvSP_
                                        ; -- End function
	.set _ZN7rocprim17ROCPRIM_400000_NS6detail17trampoline_kernelINS0_14default_configENS1_22reduce_config_selectorImEEZNS1_11reduce_implILb1ES3_N6thrust23THRUST_200600_302600_NS11hip_rocprim35transform_pair_of_input_iterators_tImNS8_6detail15normal_iteratorINS8_10device_ptrIiEEEESF_NS8_12not_equal_toIiEEEEPmmNS8_4plusImEEEE10hipError_tPvRmT1_T2_T3_mT4_P12ihipStream_tbEUlT_E1_NS1_11comp_targetILNS1_3genE8ELNS1_11target_archE1030ELNS1_3gpuE2ELNS1_3repE0EEENS1_30default_config_static_selectorELNS0_4arch9wavefront6targetE0EEEvSP_.num_vgpr, 38
	.set _ZN7rocprim17ROCPRIM_400000_NS6detail17trampoline_kernelINS0_14default_configENS1_22reduce_config_selectorImEEZNS1_11reduce_implILb1ES3_N6thrust23THRUST_200600_302600_NS11hip_rocprim35transform_pair_of_input_iterators_tImNS8_6detail15normal_iteratorINS8_10device_ptrIiEEEESF_NS8_12not_equal_toIiEEEEPmmNS8_4plusImEEEE10hipError_tPvRmT1_T2_T3_mT4_P12ihipStream_tbEUlT_E1_NS1_11comp_targetILNS1_3genE8ELNS1_11target_archE1030ELNS1_3gpuE2ELNS1_3repE0EEENS1_30default_config_static_selectorELNS0_4arch9wavefront6targetE0EEEvSP_.num_agpr, 0
	.set _ZN7rocprim17ROCPRIM_400000_NS6detail17trampoline_kernelINS0_14default_configENS1_22reduce_config_selectorImEEZNS1_11reduce_implILb1ES3_N6thrust23THRUST_200600_302600_NS11hip_rocprim35transform_pair_of_input_iterators_tImNS8_6detail15normal_iteratorINS8_10device_ptrIiEEEESF_NS8_12not_equal_toIiEEEEPmmNS8_4plusImEEEE10hipError_tPvRmT1_T2_T3_mT4_P12ihipStream_tbEUlT_E1_NS1_11comp_targetILNS1_3genE8ELNS1_11target_archE1030ELNS1_3gpuE2ELNS1_3repE0EEENS1_30default_config_static_selectorELNS0_4arch9wavefront6targetE0EEEvSP_.numbered_sgpr, 36
	.set _ZN7rocprim17ROCPRIM_400000_NS6detail17trampoline_kernelINS0_14default_configENS1_22reduce_config_selectorImEEZNS1_11reduce_implILb1ES3_N6thrust23THRUST_200600_302600_NS11hip_rocprim35transform_pair_of_input_iterators_tImNS8_6detail15normal_iteratorINS8_10device_ptrIiEEEESF_NS8_12not_equal_toIiEEEEPmmNS8_4plusImEEEE10hipError_tPvRmT1_T2_T3_mT4_P12ihipStream_tbEUlT_E1_NS1_11comp_targetILNS1_3genE8ELNS1_11target_archE1030ELNS1_3gpuE2ELNS1_3repE0EEENS1_30default_config_static_selectorELNS0_4arch9wavefront6targetE0EEEvSP_.num_named_barrier, 0
	.set _ZN7rocprim17ROCPRIM_400000_NS6detail17trampoline_kernelINS0_14default_configENS1_22reduce_config_selectorImEEZNS1_11reduce_implILb1ES3_N6thrust23THRUST_200600_302600_NS11hip_rocprim35transform_pair_of_input_iterators_tImNS8_6detail15normal_iteratorINS8_10device_ptrIiEEEESF_NS8_12not_equal_toIiEEEEPmmNS8_4plusImEEEE10hipError_tPvRmT1_T2_T3_mT4_P12ihipStream_tbEUlT_E1_NS1_11comp_targetILNS1_3genE8ELNS1_11target_archE1030ELNS1_3gpuE2ELNS1_3repE0EEENS1_30default_config_static_selectorELNS0_4arch9wavefront6targetE0EEEvSP_.private_seg_size, 0
	.set _ZN7rocprim17ROCPRIM_400000_NS6detail17trampoline_kernelINS0_14default_configENS1_22reduce_config_selectorImEEZNS1_11reduce_implILb1ES3_N6thrust23THRUST_200600_302600_NS11hip_rocprim35transform_pair_of_input_iterators_tImNS8_6detail15normal_iteratorINS8_10device_ptrIiEEEESF_NS8_12not_equal_toIiEEEEPmmNS8_4plusImEEEE10hipError_tPvRmT1_T2_T3_mT4_P12ihipStream_tbEUlT_E1_NS1_11comp_targetILNS1_3genE8ELNS1_11target_archE1030ELNS1_3gpuE2ELNS1_3repE0EEENS1_30default_config_static_selectorELNS0_4arch9wavefront6targetE0EEEvSP_.uses_vcc, 1
	.set _ZN7rocprim17ROCPRIM_400000_NS6detail17trampoline_kernelINS0_14default_configENS1_22reduce_config_selectorImEEZNS1_11reduce_implILb1ES3_N6thrust23THRUST_200600_302600_NS11hip_rocprim35transform_pair_of_input_iterators_tImNS8_6detail15normal_iteratorINS8_10device_ptrIiEEEESF_NS8_12not_equal_toIiEEEEPmmNS8_4plusImEEEE10hipError_tPvRmT1_T2_T3_mT4_P12ihipStream_tbEUlT_E1_NS1_11comp_targetILNS1_3genE8ELNS1_11target_archE1030ELNS1_3gpuE2ELNS1_3repE0EEENS1_30default_config_static_selectorELNS0_4arch9wavefront6targetE0EEEvSP_.uses_flat_scratch, 0
	.set _ZN7rocprim17ROCPRIM_400000_NS6detail17trampoline_kernelINS0_14default_configENS1_22reduce_config_selectorImEEZNS1_11reduce_implILb1ES3_N6thrust23THRUST_200600_302600_NS11hip_rocprim35transform_pair_of_input_iterators_tImNS8_6detail15normal_iteratorINS8_10device_ptrIiEEEESF_NS8_12not_equal_toIiEEEEPmmNS8_4plusImEEEE10hipError_tPvRmT1_T2_T3_mT4_P12ihipStream_tbEUlT_E1_NS1_11comp_targetILNS1_3genE8ELNS1_11target_archE1030ELNS1_3gpuE2ELNS1_3repE0EEENS1_30default_config_static_selectorELNS0_4arch9wavefront6targetE0EEEvSP_.has_dyn_sized_stack, 0
	.set _ZN7rocprim17ROCPRIM_400000_NS6detail17trampoline_kernelINS0_14default_configENS1_22reduce_config_selectorImEEZNS1_11reduce_implILb1ES3_N6thrust23THRUST_200600_302600_NS11hip_rocprim35transform_pair_of_input_iterators_tImNS8_6detail15normal_iteratorINS8_10device_ptrIiEEEESF_NS8_12not_equal_toIiEEEEPmmNS8_4plusImEEEE10hipError_tPvRmT1_T2_T3_mT4_P12ihipStream_tbEUlT_E1_NS1_11comp_targetILNS1_3genE8ELNS1_11target_archE1030ELNS1_3gpuE2ELNS1_3repE0EEENS1_30default_config_static_selectorELNS0_4arch9wavefront6targetE0EEEvSP_.has_recursion, 0
	.set _ZN7rocprim17ROCPRIM_400000_NS6detail17trampoline_kernelINS0_14default_configENS1_22reduce_config_selectorImEEZNS1_11reduce_implILb1ES3_N6thrust23THRUST_200600_302600_NS11hip_rocprim35transform_pair_of_input_iterators_tImNS8_6detail15normal_iteratorINS8_10device_ptrIiEEEESF_NS8_12not_equal_toIiEEEEPmmNS8_4plusImEEEE10hipError_tPvRmT1_T2_T3_mT4_P12ihipStream_tbEUlT_E1_NS1_11comp_targetILNS1_3genE8ELNS1_11target_archE1030ELNS1_3gpuE2ELNS1_3repE0EEENS1_30default_config_static_selectorELNS0_4arch9wavefront6targetE0EEEvSP_.has_indirect_call, 0
	.section	.AMDGPU.csdata,"",@progbits
; Kernel info:
; codeLenInByte = 13936
; TotalNumSgprs: 38
; NumVgprs: 38
; ScratchSize: 0
; MemoryBound: 0
; FloatMode: 240
; IeeeMode: 1
; LDSByteSize: 384 bytes/workgroup (compile time only)
; SGPRBlocks: 0
; VGPRBlocks: 4
; NumSGPRsForWavesPerEU: 38
; NumVGPRsForWavesPerEU: 38
; Occupancy: 16
; WaveLimiterHint : 0
; COMPUTE_PGM_RSRC2:SCRATCH_EN: 0
; COMPUTE_PGM_RSRC2:USER_SGPR: 6
; COMPUTE_PGM_RSRC2:TRAP_HANDLER: 0
; COMPUTE_PGM_RSRC2:TGID_X_EN: 1
; COMPUTE_PGM_RSRC2:TGID_Y_EN: 0
; COMPUTE_PGM_RSRC2:TGID_Z_EN: 0
; COMPUTE_PGM_RSRC2:TIDIG_COMP_CNT: 0
	.section	.text._ZN7rocprim17ROCPRIM_400000_NS6detail17trampoline_kernelINS0_14default_configENS1_25transform_config_selectorImLb0EEEZNS1_14transform_implILb0ES3_S5_NS0_17constant_iteratorImlEEPmNS0_8identityImEEEE10hipError_tT2_T3_mT4_P12ihipStream_tbEUlT_E_NS1_11comp_targetILNS1_3genE0ELNS1_11target_archE4294967295ELNS1_3gpuE0ELNS1_3repE0EEENS1_30default_config_static_selectorELNS0_4arch9wavefront6targetE0EEEvT1_,"axG",@progbits,_ZN7rocprim17ROCPRIM_400000_NS6detail17trampoline_kernelINS0_14default_configENS1_25transform_config_selectorImLb0EEEZNS1_14transform_implILb0ES3_S5_NS0_17constant_iteratorImlEEPmNS0_8identityImEEEE10hipError_tT2_T3_mT4_P12ihipStream_tbEUlT_E_NS1_11comp_targetILNS1_3genE0ELNS1_11target_archE4294967295ELNS1_3gpuE0ELNS1_3repE0EEENS1_30default_config_static_selectorELNS0_4arch9wavefront6targetE0EEEvT1_,comdat
	.protected	_ZN7rocprim17ROCPRIM_400000_NS6detail17trampoline_kernelINS0_14default_configENS1_25transform_config_selectorImLb0EEEZNS1_14transform_implILb0ES3_S5_NS0_17constant_iteratorImlEEPmNS0_8identityImEEEE10hipError_tT2_T3_mT4_P12ihipStream_tbEUlT_E_NS1_11comp_targetILNS1_3genE0ELNS1_11target_archE4294967295ELNS1_3gpuE0ELNS1_3repE0EEENS1_30default_config_static_selectorELNS0_4arch9wavefront6targetE0EEEvT1_ ; -- Begin function _ZN7rocprim17ROCPRIM_400000_NS6detail17trampoline_kernelINS0_14default_configENS1_25transform_config_selectorImLb0EEEZNS1_14transform_implILb0ES3_S5_NS0_17constant_iteratorImlEEPmNS0_8identityImEEEE10hipError_tT2_T3_mT4_P12ihipStream_tbEUlT_E_NS1_11comp_targetILNS1_3genE0ELNS1_11target_archE4294967295ELNS1_3gpuE0ELNS1_3repE0EEENS1_30default_config_static_selectorELNS0_4arch9wavefront6targetE0EEEvT1_
	.globl	_ZN7rocprim17ROCPRIM_400000_NS6detail17trampoline_kernelINS0_14default_configENS1_25transform_config_selectorImLb0EEEZNS1_14transform_implILb0ES3_S5_NS0_17constant_iteratorImlEEPmNS0_8identityImEEEE10hipError_tT2_T3_mT4_P12ihipStream_tbEUlT_E_NS1_11comp_targetILNS1_3genE0ELNS1_11target_archE4294967295ELNS1_3gpuE0ELNS1_3repE0EEENS1_30default_config_static_selectorELNS0_4arch9wavefront6targetE0EEEvT1_
	.p2align	8
	.type	_ZN7rocprim17ROCPRIM_400000_NS6detail17trampoline_kernelINS0_14default_configENS1_25transform_config_selectorImLb0EEEZNS1_14transform_implILb0ES3_S5_NS0_17constant_iteratorImlEEPmNS0_8identityImEEEE10hipError_tT2_T3_mT4_P12ihipStream_tbEUlT_E_NS1_11comp_targetILNS1_3genE0ELNS1_11target_archE4294967295ELNS1_3gpuE0ELNS1_3repE0EEENS1_30default_config_static_selectorELNS0_4arch9wavefront6targetE0EEEvT1_,@function
_ZN7rocprim17ROCPRIM_400000_NS6detail17trampoline_kernelINS0_14default_configENS1_25transform_config_selectorImLb0EEEZNS1_14transform_implILb0ES3_S5_NS0_17constant_iteratorImlEEPmNS0_8identityImEEEE10hipError_tT2_T3_mT4_P12ihipStream_tbEUlT_E_NS1_11comp_targetILNS1_3genE0ELNS1_11target_archE4294967295ELNS1_3gpuE0ELNS1_3repE0EEENS1_30default_config_static_selectorELNS0_4arch9wavefront6targetE0EEEvT1_: ; @_ZN7rocprim17ROCPRIM_400000_NS6detail17trampoline_kernelINS0_14default_configENS1_25transform_config_selectorImLb0EEEZNS1_14transform_implILb0ES3_S5_NS0_17constant_iteratorImlEEPmNS0_8identityImEEEE10hipError_tT2_T3_mT4_P12ihipStream_tbEUlT_E_NS1_11comp_targetILNS1_3genE0ELNS1_11target_archE4294967295ELNS1_3gpuE0ELNS1_3repE0EEENS1_30default_config_static_selectorELNS0_4arch9wavefront6targetE0EEEvT1_
; %bb.0:
	.section	.rodata,"a",@progbits
	.p2align	6, 0x0
	.amdhsa_kernel _ZN7rocprim17ROCPRIM_400000_NS6detail17trampoline_kernelINS0_14default_configENS1_25transform_config_selectorImLb0EEEZNS1_14transform_implILb0ES3_S5_NS0_17constant_iteratorImlEEPmNS0_8identityImEEEE10hipError_tT2_T3_mT4_P12ihipStream_tbEUlT_E_NS1_11comp_targetILNS1_3genE0ELNS1_11target_archE4294967295ELNS1_3gpuE0ELNS1_3repE0EEENS1_30default_config_static_selectorELNS0_4arch9wavefront6targetE0EEEvT1_
		.amdhsa_group_segment_fixed_size 0
		.amdhsa_private_segment_fixed_size 0
		.amdhsa_kernarg_size 48
		.amdhsa_user_sgpr_count 6
		.amdhsa_user_sgpr_private_segment_buffer 1
		.amdhsa_user_sgpr_dispatch_ptr 0
		.amdhsa_user_sgpr_queue_ptr 0
		.amdhsa_user_sgpr_kernarg_segment_ptr 1
		.amdhsa_user_sgpr_dispatch_id 0
		.amdhsa_user_sgpr_flat_scratch_init 0
		.amdhsa_user_sgpr_private_segment_size 0
		.amdhsa_wavefront_size32 1
		.amdhsa_uses_dynamic_stack 0
		.amdhsa_system_sgpr_private_segment_wavefront_offset 0
		.amdhsa_system_sgpr_workgroup_id_x 1
		.amdhsa_system_sgpr_workgroup_id_y 0
		.amdhsa_system_sgpr_workgroup_id_z 0
		.amdhsa_system_sgpr_workgroup_info 0
		.amdhsa_system_vgpr_workitem_id 0
		.amdhsa_next_free_vgpr 1
		.amdhsa_next_free_sgpr 1
		.amdhsa_reserve_vcc 0
		.amdhsa_reserve_flat_scratch 0
		.amdhsa_float_round_mode_32 0
		.amdhsa_float_round_mode_16_64 0
		.amdhsa_float_denorm_mode_32 3
		.amdhsa_float_denorm_mode_16_64 3
		.amdhsa_dx10_clamp 1
		.amdhsa_ieee_mode 1
		.amdhsa_fp16_overflow 0
		.amdhsa_workgroup_processor_mode 1
		.amdhsa_memory_ordered 1
		.amdhsa_forward_progress 1
		.amdhsa_shared_vgpr_count 0
		.amdhsa_exception_fp_ieee_invalid_op 0
		.amdhsa_exception_fp_denorm_src 0
		.amdhsa_exception_fp_ieee_div_zero 0
		.amdhsa_exception_fp_ieee_overflow 0
		.amdhsa_exception_fp_ieee_underflow 0
		.amdhsa_exception_fp_ieee_inexact 0
		.amdhsa_exception_int_div_zero 0
	.end_amdhsa_kernel
	.section	.text._ZN7rocprim17ROCPRIM_400000_NS6detail17trampoline_kernelINS0_14default_configENS1_25transform_config_selectorImLb0EEEZNS1_14transform_implILb0ES3_S5_NS0_17constant_iteratorImlEEPmNS0_8identityImEEEE10hipError_tT2_T3_mT4_P12ihipStream_tbEUlT_E_NS1_11comp_targetILNS1_3genE0ELNS1_11target_archE4294967295ELNS1_3gpuE0ELNS1_3repE0EEENS1_30default_config_static_selectorELNS0_4arch9wavefront6targetE0EEEvT1_,"axG",@progbits,_ZN7rocprim17ROCPRIM_400000_NS6detail17trampoline_kernelINS0_14default_configENS1_25transform_config_selectorImLb0EEEZNS1_14transform_implILb0ES3_S5_NS0_17constant_iteratorImlEEPmNS0_8identityImEEEE10hipError_tT2_T3_mT4_P12ihipStream_tbEUlT_E_NS1_11comp_targetILNS1_3genE0ELNS1_11target_archE4294967295ELNS1_3gpuE0ELNS1_3repE0EEENS1_30default_config_static_selectorELNS0_4arch9wavefront6targetE0EEEvT1_,comdat
.Lfunc_end56:
	.size	_ZN7rocprim17ROCPRIM_400000_NS6detail17trampoline_kernelINS0_14default_configENS1_25transform_config_selectorImLb0EEEZNS1_14transform_implILb0ES3_S5_NS0_17constant_iteratorImlEEPmNS0_8identityImEEEE10hipError_tT2_T3_mT4_P12ihipStream_tbEUlT_E_NS1_11comp_targetILNS1_3genE0ELNS1_11target_archE4294967295ELNS1_3gpuE0ELNS1_3repE0EEENS1_30default_config_static_selectorELNS0_4arch9wavefront6targetE0EEEvT1_, .Lfunc_end56-_ZN7rocprim17ROCPRIM_400000_NS6detail17trampoline_kernelINS0_14default_configENS1_25transform_config_selectorImLb0EEEZNS1_14transform_implILb0ES3_S5_NS0_17constant_iteratorImlEEPmNS0_8identityImEEEE10hipError_tT2_T3_mT4_P12ihipStream_tbEUlT_E_NS1_11comp_targetILNS1_3genE0ELNS1_11target_archE4294967295ELNS1_3gpuE0ELNS1_3repE0EEENS1_30default_config_static_selectorELNS0_4arch9wavefront6targetE0EEEvT1_
                                        ; -- End function
	.set _ZN7rocprim17ROCPRIM_400000_NS6detail17trampoline_kernelINS0_14default_configENS1_25transform_config_selectorImLb0EEEZNS1_14transform_implILb0ES3_S5_NS0_17constant_iteratorImlEEPmNS0_8identityImEEEE10hipError_tT2_T3_mT4_P12ihipStream_tbEUlT_E_NS1_11comp_targetILNS1_3genE0ELNS1_11target_archE4294967295ELNS1_3gpuE0ELNS1_3repE0EEENS1_30default_config_static_selectorELNS0_4arch9wavefront6targetE0EEEvT1_.num_vgpr, 0
	.set _ZN7rocprim17ROCPRIM_400000_NS6detail17trampoline_kernelINS0_14default_configENS1_25transform_config_selectorImLb0EEEZNS1_14transform_implILb0ES3_S5_NS0_17constant_iteratorImlEEPmNS0_8identityImEEEE10hipError_tT2_T3_mT4_P12ihipStream_tbEUlT_E_NS1_11comp_targetILNS1_3genE0ELNS1_11target_archE4294967295ELNS1_3gpuE0ELNS1_3repE0EEENS1_30default_config_static_selectorELNS0_4arch9wavefront6targetE0EEEvT1_.num_agpr, 0
	.set _ZN7rocprim17ROCPRIM_400000_NS6detail17trampoline_kernelINS0_14default_configENS1_25transform_config_selectorImLb0EEEZNS1_14transform_implILb0ES3_S5_NS0_17constant_iteratorImlEEPmNS0_8identityImEEEE10hipError_tT2_T3_mT4_P12ihipStream_tbEUlT_E_NS1_11comp_targetILNS1_3genE0ELNS1_11target_archE4294967295ELNS1_3gpuE0ELNS1_3repE0EEENS1_30default_config_static_selectorELNS0_4arch9wavefront6targetE0EEEvT1_.numbered_sgpr, 0
	.set _ZN7rocprim17ROCPRIM_400000_NS6detail17trampoline_kernelINS0_14default_configENS1_25transform_config_selectorImLb0EEEZNS1_14transform_implILb0ES3_S5_NS0_17constant_iteratorImlEEPmNS0_8identityImEEEE10hipError_tT2_T3_mT4_P12ihipStream_tbEUlT_E_NS1_11comp_targetILNS1_3genE0ELNS1_11target_archE4294967295ELNS1_3gpuE0ELNS1_3repE0EEENS1_30default_config_static_selectorELNS0_4arch9wavefront6targetE0EEEvT1_.num_named_barrier, 0
	.set _ZN7rocprim17ROCPRIM_400000_NS6detail17trampoline_kernelINS0_14default_configENS1_25transform_config_selectorImLb0EEEZNS1_14transform_implILb0ES3_S5_NS0_17constant_iteratorImlEEPmNS0_8identityImEEEE10hipError_tT2_T3_mT4_P12ihipStream_tbEUlT_E_NS1_11comp_targetILNS1_3genE0ELNS1_11target_archE4294967295ELNS1_3gpuE0ELNS1_3repE0EEENS1_30default_config_static_selectorELNS0_4arch9wavefront6targetE0EEEvT1_.private_seg_size, 0
	.set _ZN7rocprim17ROCPRIM_400000_NS6detail17trampoline_kernelINS0_14default_configENS1_25transform_config_selectorImLb0EEEZNS1_14transform_implILb0ES3_S5_NS0_17constant_iteratorImlEEPmNS0_8identityImEEEE10hipError_tT2_T3_mT4_P12ihipStream_tbEUlT_E_NS1_11comp_targetILNS1_3genE0ELNS1_11target_archE4294967295ELNS1_3gpuE0ELNS1_3repE0EEENS1_30default_config_static_selectorELNS0_4arch9wavefront6targetE0EEEvT1_.uses_vcc, 0
	.set _ZN7rocprim17ROCPRIM_400000_NS6detail17trampoline_kernelINS0_14default_configENS1_25transform_config_selectorImLb0EEEZNS1_14transform_implILb0ES3_S5_NS0_17constant_iteratorImlEEPmNS0_8identityImEEEE10hipError_tT2_T3_mT4_P12ihipStream_tbEUlT_E_NS1_11comp_targetILNS1_3genE0ELNS1_11target_archE4294967295ELNS1_3gpuE0ELNS1_3repE0EEENS1_30default_config_static_selectorELNS0_4arch9wavefront6targetE0EEEvT1_.uses_flat_scratch, 0
	.set _ZN7rocprim17ROCPRIM_400000_NS6detail17trampoline_kernelINS0_14default_configENS1_25transform_config_selectorImLb0EEEZNS1_14transform_implILb0ES3_S5_NS0_17constant_iteratorImlEEPmNS0_8identityImEEEE10hipError_tT2_T3_mT4_P12ihipStream_tbEUlT_E_NS1_11comp_targetILNS1_3genE0ELNS1_11target_archE4294967295ELNS1_3gpuE0ELNS1_3repE0EEENS1_30default_config_static_selectorELNS0_4arch9wavefront6targetE0EEEvT1_.has_dyn_sized_stack, 0
	.set _ZN7rocprim17ROCPRIM_400000_NS6detail17trampoline_kernelINS0_14default_configENS1_25transform_config_selectorImLb0EEEZNS1_14transform_implILb0ES3_S5_NS0_17constant_iteratorImlEEPmNS0_8identityImEEEE10hipError_tT2_T3_mT4_P12ihipStream_tbEUlT_E_NS1_11comp_targetILNS1_3genE0ELNS1_11target_archE4294967295ELNS1_3gpuE0ELNS1_3repE0EEENS1_30default_config_static_selectorELNS0_4arch9wavefront6targetE0EEEvT1_.has_recursion, 0
	.set _ZN7rocprim17ROCPRIM_400000_NS6detail17trampoline_kernelINS0_14default_configENS1_25transform_config_selectorImLb0EEEZNS1_14transform_implILb0ES3_S5_NS0_17constant_iteratorImlEEPmNS0_8identityImEEEE10hipError_tT2_T3_mT4_P12ihipStream_tbEUlT_E_NS1_11comp_targetILNS1_3genE0ELNS1_11target_archE4294967295ELNS1_3gpuE0ELNS1_3repE0EEENS1_30default_config_static_selectorELNS0_4arch9wavefront6targetE0EEEvT1_.has_indirect_call, 0
	.section	.AMDGPU.csdata,"",@progbits
; Kernel info:
; codeLenInByte = 0
; TotalNumSgprs: 0
; NumVgprs: 0
; ScratchSize: 0
; MemoryBound: 0
; FloatMode: 240
; IeeeMode: 1
; LDSByteSize: 0 bytes/workgroup (compile time only)
; SGPRBlocks: 0
; VGPRBlocks: 0
; NumSGPRsForWavesPerEU: 1
; NumVGPRsForWavesPerEU: 1
; Occupancy: 16
; WaveLimiterHint : 0
; COMPUTE_PGM_RSRC2:SCRATCH_EN: 0
; COMPUTE_PGM_RSRC2:USER_SGPR: 6
; COMPUTE_PGM_RSRC2:TRAP_HANDLER: 0
; COMPUTE_PGM_RSRC2:TGID_X_EN: 1
; COMPUTE_PGM_RSRC2:TGID_Y_EN: 0
; COMPUTE_PGM_RSRC2:TGID_Z_EN: 0
; COMPUTE_PGM_RSRC2:TIDIG_COMP_CNT: 0
	.section	.text._ZN7rocprim17ROCPRIM_400000_NS6detail17trampoline_kernelINS0_14default_configENS1_25transform_config_selectorImLb0EEEZNS1_14transform_implILb0ES3_S5_NS0_17constant_iteratorImlEEPmNS0_8identityImEEEE10hipError_tT2_T3_mT4_P12ihipStream_tbEUlT_E_NS1_11comp_targetILNS1_3genE5ELNS1_11target_archE942ELNS1_3gpuE9ELNS1_3repE0EEENS1_30default_config_static_selectorELNS0_4arch9wavefront6targetE0EEEvT1_,"axG",@progbits,_ZN7rocprim17ROCPRIM_400000_NS6detail17trampoline_kernelINS0_14default_configENS1_25transform_config_selectorImLb0EEEZNS1_14transform_implILb0ES3_S5_NS0_17constant_iteratorImlEEPmNS0_8identityImEEEE10hipError_tT2_T3_mT4_P12ihipStream_tbEUlT_E_NS1_11comp_targetILNS1_3genE5ELNS1_11target_archE942ELNS1_3gpuE9ELNS1_3repE0EEENS1_30default_config_static_selectorELNS0_4arch9wavefront6targetE0EEEvT1_,comdat
	.protected	_ZN7rocprim17ROCPRIM_400000_NS6detail17trampoline_kernelINS0_14default_configENS1_25transform_config_selectorImLb0EEEZNS1_14transform_implILb0ES3_S5_NS0_17constant_iteratorImlEEPmNS0_8identityImEEEE10hipError_tT2_T3_mT4_P12ihipStream_tbEUlT_E_NS1_11comp_targetILNS1_3genE5ELNS1_11target_archE942ELNS1_3gpuE9ELNS1_3repE0EEENS1_30default_config_static_selectorELNS0_4arch9wavefront6targetE0EEEvT1_ ; -- Begin function _ZN7rocprim17ROCPRIM_400000_NS6detail17trampoline_kernelINS0_14default_configENS1_25transform_config_selectorImLb0EEEZNS1_14transform_implILb0ES3_S5_NS0_17constant_iteratorImlEEPmNS0_8identityImEEEE10hipError_tT2_T3_mT4_P12ihipStream_tbEUlT_E_NS1_11comp_targetILNS1_3genE5ELNS1_11target_archE942ELNS1_3gpuE9ELNS1_3repE0EEENS1_30default_config_static_selectorELNS0_4arch9wavefront6targetE0EEEvT1_
	.globl	_ZN7rocprim17ROCPRIM_400000_NS6detail17trampoline_kernelINS0_14default_configENS1_25transform_config_selectorImLb0EEEZNS1_14transform_implILb0ES3_S5_NS0_17constant_iteratorImlEEPmNS0_8identityImEEEE10hipError_tT2_T3_mT4_P12ihipStream_tbEUlT_E_NS1_11comp_targetILNS1_3genE5ELNS1_11target_archE942ELNS1_3gpuE9ELNS1_3repE0EEENS1_30default_config_static_selectorELNS0_4arch9wavefront6targetE0EEEvT1_
	.p2align	8
	.type	_ZN7rocprim17ROCPRIM_400000_NS6detail17trampoline_kernelINS0_14default_configENS1_25transform_config_selectorImLb0EEEZNS1_14transform_implILb0ES3_S5_NS0_17constant_iteratorImlEEPmNS0_8identityImEEEE10hipError_tT2_T3_mT4_P12ihipStream_tbEUlT_E_NS1_11comp_targetILNS1_3genE5ELNS1_11target_archE942ELNS1_3gpuE9ELNS1_3repE0EEENS1_30default_config_static_selectorELNS0_4arch9wavefront6targetE0EEEvT1_,@function
_ZN7rocprim17ROCPRIM_400000_NS6detail17trampoline_kernelINS0_14default_configENS1_25transform_config_selectorImLb0EEEZNS1_14transform_implILb0ES3_S5_NS0_17constant_iteratorImlEEPmNS0_8identityImEEEE10hipError_tT2_T3_mT4_P12ihipStream_tbEUlT_E_NS1_11comp_targetILNS1_3genE5ELNS1_11target_archE942ELNS1_3gpuE9ELNS1_3repE0EEENS1_30default_config_static_selectorELNS0_4arch9wavefront6targetE0EEEvT1_: ; @_ZN7rocprim17ROCPRIM_400000_NS6detail17trampoline_kernelINS0_14default_configENS1_25transform_config_selectorImLb0EEEZNS1_14transform_implILb0ES3_S5_NS0_17constant_iteratorImlEEPmNS0_8identityImEEEE10hipError_tT2_T3_mT4_P12ihipStream_tbEUlT_E_NS1_11comp_targetILNS1_3genE5ELNS1_11target_archE942ELNS1_3gpuE9ELNS1_3repE0EEENS1_30default_config_static_selectorELNS0_4arch9wavefront6targetE0EEEvT1_
; %bb.0:
	.section	.rodata,"a",@progbits
	.p2align	6, 0x0
	.amdhsa_kernel _ZN7rocprim17ROCPRIM_400000_NS6detail17trampoline_kernelINS0_14default_configENS1_25transform_config_selectorImLb0EEEZNS1_14transform_implILb0ES3_S5_NS0_17constant_iteratorImlEEPmNS0_8identityImEEEE10hipError_tT2_T3_mT4_P12ihipStream_tbEUlT_E_NS1_11comp_targetILNS1_3genE5ELNS1_11target_archE942ELNS1_3gpuE9ELNS1_3repE0EEENS1_30default_config_static_selectorELNS0_4arch9wavefront6targetE0EEEvT1_
		.amdhsa_group_segment_fixed_size 0
		.amdhsa_private_segment_fixed_size 0
		.amdhsa_kernarg_size 48
		.amdhsa_user_sgpr_count 6
		.amdhsa_user_sgpr_private_segment_buffer 1
		.amdhsa_user_sgpr_dispatch_ptr 0
		.amdhsa_user_sgpr_queue_ptr 0
		.amdhsa_user_sgpr_kernarg_segment_ptr 1
		.amdhsa_user_sgpr_dispatch_id 0
		.amdhsa_user_sgpr_flat_scratch_init 0
		.amdhsa_user_sgpr_private_segment_size 0
		.amdhsa_wavefront_size32 1
		.amdhsa_uses_dynamic_stack 0
		.amdhsa_system_sgpr_private_segment_wavefront_offset 0
		.amdhsa_system_sgpr_workgroup_id_x 1
		.amdhsa_system_sgpr_workgroup_id_y 0
		.amdhsa_system_sgpr_workgroup_id_z 0
		.amdhsa_system_sgpr_workgroup_info 0
		.amdhsa_system_vgpr_workitem_id 0
		.amdhsa_next_free_vgpr 1
		.amdhsa_next_free_sgpr 1
		.amdhsa_reserve_vcc 0
		.amdhsa_reserve_flat_scratch 0
		.amdhsa_float_round_mode_32 0
		.amdhsa_float_round_mode_16_64 0
		.amdhsa_float_denorm_mode_32 3
		.amdhsa_float_denorm_mode_16_64 3
		.amdhsa_dx10_clamp 1
		.amdhsa_ieee_mode 1
		.amdhsa_fp16_overflow 0
		.amdhsa_workgroup_processor_mode 1
		.amdhsa_memory_ordered 1
		.amdhsa_forward_progress 1
		.amdhsa_shared_vgpr_count 0
		.amdhsa_exception_fp_ieee_invalid_op 0
		.amdhsa_exception_fp_denorm_src 0
		.amdhsa_exception_fp_ieee_div_zero 0
		.amdhsa_exception_fp_ieee_overflow 0
		.amdhsa_exception_fp_ieee_underflow 0
		.amdhsa_exception_fp_ieee_inexact 0
		.amdhsa_exception_int_div_zero 0
	.end_amdhsa_kernel
	.section	.text._ZN7rocprim17ROCPRIM_400000_NS6detail17trampoline_kernelINS0_14default_configENS1_25transform_config_selectorImLb0EEEZNS1_14transform_implILb0ES3_S5_NS0_17constant_iteratorImlEEPmNS0_8identityImEEEE10hipError_tT2_T3_mT4_P12ihipStream_tbEUlT_E_NS1_11comp_targetILNS1_3genE5ELNS1_11target_archE942ELNS1_3gpuE9ELNS1_3repE0EEENS1_30default_config_static_selectorELNS0_4arch9wavefront6targetE0EEEvT1_,"axG",@progbits,_ZN7rocprim17ROCPRIM_400000_NS6detail17trampoline_kernelINS0_14default_configENS1_25transform_config_selectorImLb0EEEZNS1_14transform_implILb0ES3_S5_NS0_17constant_iteratorImlEEPmNS0_8identityImEEEE10hipError_tT2_T3_mT4_P12ihipStream_tbEUlT_E_NS1_11comp_targetILNS1_3genE5ELNS1_11target_archE942ELNS1_3gpuE9ELNS1_3repE0EEENS1_30default_config_static_selectorELNS0_4arch9wavefront6targetE0EEEvT1_,comdat
.Lfunc_end57:
	.size	_ZN7rocprim17ROCPRIM_400000_NS6detail17trampoline_kernelINS0_14default_configENS1_25transform_config_selectorImLb0EEEZNS1_14transform_implILb0ES3_S5_NS0_17constant_iteratorImlEEPmNS0_8identityImEEEE10hipError_tT2_T3_mT4_P12ihipStream_tbEUlT_E_NS1_11comp_targetILNS1_3genE5ELNS1_11target_archE942ELNS1_3gpuE9ELNS1_3repE0EEENS1_30default_config_static_selectorELNS0_4arch9wavefront6targetE0EEEvT1_, .Lfunc_end57-_ZN7rocprim17ROCPRIM_400000_NS6detail17trampoline_kernelINS0_14default_configENS1_25transform_config_selectorImLb0EEEZNS1_14transform_implILb0ES3_S5_NS0_17constant_iteratorImlEEPmNS0_8identityImEEEE10hipError_tT2_T3_mT4_P12ihipStream_tbEUlT_E_NS1_11comp_targetILNS1_3genE5ELNS1_11target_archE942ELNS1_3gpuE9ELNS1_3repE0EEENS1_30default_config_static_selectorELNS0_4arch9wavefront6targetE0EEEvT1_
                                        ; -- End function
	.set _ZN7rocprim17ROCPRIM_400000_NS6detail17trampoline_kernelINS0_14default_configENS1_25transform_config_selectorImLb0EEEZNS1_14transform_implILb0ES3_S5_NS0_17constant_iteratorImlEEPmNS0_8identityImEEEE10hipError_tT2_T3_mT4_P12ihipStream_tbEUlT_E_NS1_11comp_targetILNS1_3genE5ELNS1_11target_archE942ELNS1_3gpuE9ELNS1_3repE0EEENS1_30default_config_static_selectorELNS0_4arch9wavefront6targetE0EEEvT1_.num_vgpr, 0
	.set _ZN7rocprim17ROCPRIM_400000_NS6detail17trampoline_kernelINS0_14default_configENS1_25transform_config_selectorImLb0EEEZNS1_14transform_implILb0ES3_S5_NS0_17constant_iteratorImlEEPmNS0_8identityImEEEE10hipError_tT2_T3_mT4_P12ihipStream_tbEUlT_E_NS1_11comp_targetILNS1_3genE5ELNS1_11target_archE942ELNS1_3gpuE9ELNS1_3repE0EEENS1_30default_config_static_selectorELNS0_4arch9wavefront6targetE0EEEvT1_.num_agpr, 0
	.set _ZN7rocprim17ROCPRIM_400000_NS6detail17trampoline_kernelINS0_14default_configENS1_25transform_config_selectorImLb0EEEZNS1_14transform_implILb0ES3_S5_NS0_17constant_iteratorImlEEPmNS0_8identityImEEEE10hipError_tT2_T3_mT4_P12ihipStream_tbEUlT_E_NS1_11comp_targetILNS1_3genE5ELNS1_11target_archE942ELNS1_3gpuE9ELNS1_3repE0EEENS1_30default_config_static_selectorELNS0_4arch9wavefront6targetE0EEEvT1_.numbered_sgpr, 0
	.set _ZN7rocprim17ROCPRIM_400000_NS6detail17trampoline_kernelINS0_14default_configENS1_25transform_config_selectorImLb0EEEZNS1_14transform_implILb0ES3_S5_NS0_17constant_iteratorImlEEPmNS0_8identityImEEEE10hipError_tT2_T3_mT4_P12ihipStream_tbEUlT_E_NS1_11comp_targetILNS1_3genE5ELNS1_11target_archE942ELNS1_3gpuE9ELNS1_3repE0EEENS1_30default_config_static_selectorELNS0_4arch9wavefront6targetE0EEEvT1_.num_named_barrier, 0
	.set _ZN7rocprim17ROCPRIM_400000_NS6detail17trampoline_kernelINS0_14default_configENS1_25transform_config_selectorImLb0EEEZNS1_14transform_implILb0ES3_S5_NS0_17constant_iteratorImlEEPmNS0_8identityImEEEE10hipError_tT2_T3_mT4_P12ihipStream_tbEUlT_E_NS1_11comp_targetILNS1_3genE5ELNS1_11target_archE942ELNS1_3gpuE9ELNS1_3repE0EEENS1_30default_config_static_selectorELNS0_4arch9wavefront6targetE0EEEvT1_.private_seg_size, 0
	.set _ZN7rocprim17ROCPRIM_400000_NS6detail17trampoline_kernelINS0_14default_configENS1_25transform_config_selectorImLb0EEEZNS1_14transform_implILb0ES3_S5_NS0_17constant_iteratorImlEEPmNS0_8identityImEEEE10hipError_tT2_T3_mT4_P12ihipStream_tbEUlT_E_NS1_11comp_targetILNS1_3genE5ELNS1_11target_archE942ELNS1_3gpuE9ELNS1_3repE0EEENS1_30default_config_static_selectorELNS0_4arch9wavefront6targetE0EEEvT1_.uses_vcc, 0
	.set _ZN7rocprim17ROCPRIM_400000_NS6detail17trampoline_kernelINS0_14default_configENS1_25transform_config_selectorImLb0EEEZNS1_14transform_implILb0ES3_S5_NS0_17constant_iteratorImlEEPmNS0_8identityImEEEE10hipError_tT2_T3_mT4_P12ihipStream_tbEUlT_E_NS1_11comp_targetILNS1_3genE5ELNS1_11target_archE942ELNS1_3gpuE9ELNS1_3repE0EEENS1_30default_config_static_selectorELNS0_4arch9wavefront6targetE0EEEvT1_.uses_flat_scratch, 0
	.set _ZN7rocprim17ROCPRIM_400000_NS6detail17trampoline_kernelINS0_14default_configENS1_25transform_config_selectorImLb0EEEZNS1_14transform_implILb0ES3_S5_NS0_17constant_iteratorImlEEPmNS0_8identityImEEEE10hipError_tT2_T3_mT4_P12ihipStream_tbEUlT_E_NS1_11comp_targetILNS1_3genE5ELNS1_11target_archE942ELNS1_3gpuE9ELNS1_3repE0EEENS1_30default_config_static_selectorELNS0_4arch9wavefront6targetE0EEEvT1_.has_dyn_sized_stack, 0
	.set _ZN7rocprim17ROCPRIM_400000_NS6detail17trampoline_kernelINS0_14default_configENS1_25transform_config_selectorImLb0EEEZNS1_14transform_implILb0ES3_S5_NS0_17constant_iteratorImlEEPmNS0_8identityImEEEE10hipError_tT2_T3_mT4_P12ihipStream_tbEUlT_E_NS1_11comp_targetILNS1_3genE5ELNS1_11target_archE942ELNS1_3gpuE9ELNS1_3repE0EEENS1_30default_config_static_selectorELNS0_4arch9wavefront6targetE0EEEvT1_.has_recursion, 0
	.set _ZN7rocprim17ROCPRIM_400000_NS6detail17trampoline_kernelINS0_14default_configENS1_25transform_config_selectorImLb0EEEZNS1_14transform_implILb0ES3_S5_NS0_17constant_iteratorImlEEPmNS0_8identityImEEEE10hipError_tT2_T3_mT4_P12ihipStream_tbEUlT_E_NS1_11comp_targetILNS1_3genE5ELNS1_11target_archE942ELNS1_3gpuE9ELNS1_3repE0EEENS1_30default_config_static_selectorELNS0_4arch9wavefront6targetE0EEEvT1_.has_indirect_call, 0
	.section	.AMDGPU.csdata,"",@progbits
; Kernel info:
; codeLenInByte = 0
; TotalNumSgprs: 0
; NumVgprs: 0
; ScratchSize: 0
; MemoryBound: 0
; FloatMode: 240
; IeeeMode: 1
; LDSByteSize: 0 bytes/workgroup (compile time only)
; SGPRBlocks: 0
; VGPRBlocks: 0
; NumSGPRsForWavesPerEU: 1
; NumVGPRsForWavesPerEU: 1
; Occupancy: 16
; WaveLimiterHint : 0
; COMPUTE_PGM_RSRC2:SCRATCH_EN: 0
; COMPUTE_PGM_RSRC2:USER_SGPR: 6
; COMPUTE_PGM_RSRC2:TRAP_HANDLER: 0
; COMPUTE_PGM_RSRC2:TGID_X_EN: 1
; COMPUTE_PGM_RSRC2:TGID_Y_EN: 0
; COMPUTE_PGM_RSRC2:TGID_Z_EN: 0
; COMPUTE_PGM_RSRC2:TIDIG_COMP_CNT: 0
	.section	.text._ZN7rocprim17ROCPRIM_400000_NS6detail17trampoline_kernelINS0_14default_configENS1_25transform_config_selectorImLb0EEEZNS1_14transform_implILb0ES3_S5_NS0_17constant_iteratorImlEEPmNS0_8identityImEEEE10hipError_tT2_T3_mT4_P12ihipStream_tbEUlT_E_NS1_11comp_targetILNS1_3genE4ELNS1_11target_archE910ELNS1_3gpuE8ELNS1_3repE0EEENS1_30default_config_static_selectorELNS0_4arch9wavefront6targetE0EEEvT1_,"axG",@progbits,_ZN7rocprim17ROCPRIM_400000_NS6detail17trampoline_kernelINS0_14default_configENS1_25transform_config_selectorImLb0EEEZNS1_14transform_implILb0ES3_S5_NS0_17constant_iteratorImlEEPmNS0_8identityImEEEE10hipError_tT2_T3_mT4_P12ihipStream_tbEUlT_E_NS1_11comp_targetILNS1_3genE4ELNS1_11target_archE910ELNS1_3gpuE8ELNS1_3repE0EEENS1_30default_config_static_selectorELNS0_4arch9wavefront6targetE0EEEvT1_,comdat
	.protected	_ZN7rocprim17ROCPRIM_400000_NS6detail17trampoline_kernelINS0_14default_configENS1_25transform_config_selectorImLb0EEEZNS1_14transform_implILb0ES3_S5_NS0_17constant_iteratorImlEEPmNS0_8identityImEEEE10hipError_tT2_T3_mT4_P12ihipStream_tbEUlT_E_NS1_11comp_targetILNS1_3genE4ELNS1_11target_archE910ELNS1_3gpuE8ELNS1_3repE0EEENS1_30default_config_static_selectorELNS0_4arch9wavefront6targetE0EEEvT1_ ; -- Begin function _ZN7rocprim17ROCPRIM_400000_NS6detail17trampoline_kernelINS0_14default_configENS1_25transform_config_selectorImLb0EEEZNS1_14transform_implILb0ES3_S5_NS0_17constant_iteratorImlEEPmNS0_8identityImEEEE10hipError_tT2_T3_mT4_P12ihipStream_tbEUlT_E_NS1_11comp_targetILNS1_3genE4ELNS1_11target_archE910ELNS1_3gpuE8ELNS1_3repE0EEENS1_30default_config_static_selectorELNS0_4arch9wavefront6targetE0EEEvT1_
	.globl	_ZN7rocprim17ROCPRIM_400000_NS6detail17trampoline_kernelINS0_14default_configENS1_25transform_config_selectorImLb0EEEZNS1_14transform_implILb0ES3_S5_NS0_17constant_iteratorImlEEPmNS0_8identityImEEEE10hipError_tT2_T3_mT4_P12ihipStream_tbEUlT_E_NS1_11comp_targetILNS1_3genE4ELNS1_11target_archE910ELNS1_3gpuE8ELNS1_3repE0EEENS1_30default_config_static_selectorELNS0_4arch9wavefront6targetE0EEEvT1_
	.p2align	8
	.type	_ZN7rocprim17ROCPRIM_400000_NS6detail17trampoline_kernelINS0_14default_configENS1_25transform_config_selectorImLb0EEEZNS1_14transform_implILb0ES3_S5_NS0_17constant_iteratorImlEEPmNS0_8identityImEEEE10hipError_tT2_T3_mT4_P12ihipStream_tbEUlT_E_NS1_11comp_targetILNS1_3genE4ELNS1_11target_archE910ELNS1_3gpuE8ELNS1_3repE0EEENS1_30default_config_static_selectorELNS0_4arch9wavefront6targetE0EEEvT1_,@function
_ZN7rocprim17ROCPRIM_400000_NS6detail17trampoline_kernelINS0_14default_configENS1_25transform_config_selectorImLb0EEEZNS1_14transform_implILb0ES3_S5_NS0_17constant_iteratorImlEEPmNS0_8identityImEEEE10hipError_tT2_T3_mT4_P12ihipStream_tbEUlT_E_NS1_11comp_targetILNS1_3genE4ELNS1_11target_archE910ELNS1_3gpuE8ELNS1_3repE0EEENS1_30default_config_static_selectorELNS0_4arch9wavefront6targetE0EEEvT1_: ; @_ZN7rocprim17ROCPRIM_400000_NS6detail17trampoline_kernelINS0_14default_configENS1_25transform_config_selectorImLb0EEEZNS1_14transform_implILb0ES3_S5_NS0_17constant_iteratorImlEEPmNS0_8identityImEEEE10hipError_tT2_T3_mT4_P12ihipStream_tbEUlT_E_NS1_11comp_targetILNS1_3genE4ELNS1_11target_archE910ELNS1_3gpuE8ELNS1_3repE0EEENS1_30default_config_static_selectorELNS0_4arch9wavefront6targetE0EEEvT1_
; %bb.0:
	.section	.rodata,"a",@progbits
	.p2align	6, 0x0
	.amdhsa_kernel _ZN7rocprim17ROCPRIM_400000_NS6detail17trampoline_kernelINS0_14default_configENS1_25transform_config_selectorImLb0EEEZNS1_14transform_implILb0ES3_S5_NS0_17constant_iteratorImlEEPmNS0_8identityImEEEE10hipError_tT2_T3_mT4_P12ihipStream_tbEUlT_E_NS1_11comp_targetILNS1_3genE4ELNS1_11target_archE910ELNS1_3gpuE8ELNS1_3repE0EEENS1_30default_config_static_selectorELNS0_4arch9wavefront6targetE0EEEvT1_
		.amdhsa_group_segment_fixed_size 0
		.amdhsa_private_segment_fixed_size 0
		.amdhsa_kernarg_size 48
		.amdhsa_user_sgpr_count 6
		.amdhsa_user_sgpr_private_segment_buffer 1
		.amdhsa_user_sgpr_dispatch_ptr 0
		.amdhsa_user_sgpr_queue_ptr 0
		.amdhsa_user_sgpr_kernarg_segment_ptr 1
		.amdhsa_user_sgpr_dispatch_id 0
		.amdhsa_user_sgpr_flat_scratch_init 0
		.amdhsa_user_sgpr_private_segment_size 0
		.amdhsa_wavefront_size32 1
		.amdhsa_uses_dynamic_stack 0
		.amdhsa_system_sgpr_private_segment_wavefront_offset 0
		.amdhsa_system_sgpr_workgroup_id_x 1
		.amdhsa_system_sgpr_workgroup_id_y 0
		.amdhsa_system_sgpr_workgroup_id_z 0
		.amdhsa_system_sgpr_workgroup_info 0
		.amdhsa_system_vgpr_workitem_id 0
		.amdhsa_next_free_vgpr 1
		.amdhsa_next_free_sgpr 1
		.amdhsa_reserve_vcc 0
		.amdhsa_reserve_flat_scratch 0
		.amdhsa_float_round_mode_32 0
		.amdhsa_float_round_mode_16_64 0
		.amdhsa_float_denorm_mode_32 3
		.amdhsa_float_denorm_mode_16_64 3
		.amdhsa_dx10_clamp 1
		.amdhsa_ieee_mode 1
		.amdhsa_fp16_overflow 0
		.amdhsa_workgroup_processor_mode 1
		.amdhsa_memory_ordered 1
		.amdhsa_forward_progress 1
		.amdhsa_shared_vgpr_count 0
		.amdhsa_exception_fp_ieee_invalid_op 0
		.amdhsa_exception_fp_denorm_src 0
		.amdhsa_exception_fp_ieee_div_zero 0
		.amdhsa_exception_fp_ieee_overflow 0
		.amdhsa_exception_fp_ieee_underflow 0
		.amdhsa_exception_fp_ieee_inexact 0
		.amdhsa_exception_int_div_zero 0
	.end_amdhsa_kernel
	.section	.text._ZN7rocprim17ROCPRIM_400000_NS6detail17trampoline_kernelINS0_14default_configENS1_25transform_config_selectorImLb0EEEZNS1_14transform_implILb0ES3_S5_NS0_17constant_iteratorImlEEPmNS0_8identityImEEEE10hipError_tT2_T3_mT4_P12ihipStream_tbEUlT_E_NS1_11comp_targetILNS1_3genE4ELNS1_11target_archE910ELNS1_3gpuE8ELNS1_3repE0EEENS1_30default_config_static_selectorELNS0_4arch9wavefront6targetE0EEEvT1_,"axG",@progbits,_ZN7rocprim17ROCPRIM_400000_NS6detail17trampoline_kernelINS0_14default_configENS1_25transform_config_selectorImLb0EEEZNS1_14transform_implILb0ES3_S5_NS0_17constant_iteratorImlEEPmNS0_8identityImEEEE10hipError_tT2_T3_mT4_P12ihipStream_tbEUlT_E_NS1_11comp_targetILNS1_3genE4ELNS1_11target_archE910ELNS1_3gpuE8ELNS1_3repE0EEENS1_30default_config_static_selectorELNS0_4arch9wavefront6targetE0EEEvT1_,comdat
.Lfunc_end58:
	.size	_ZN7rocprim17ROCPRIM_400000_NS6detail17trampoline_kernelINS0_14default_configENS1_25transform_config_selectorImLb0EEEZNS1_14transform_implILb0ES3_S5_NS0_17constant_iteratorImlEEPmNS0_8identityImEEEE10hipError_tT2_T3_mT4_P12ihipStream_tbEUlT_E_NS1_11comp_targetILNS1_3genE4ELNS1_11target_archE910ELNS1_3gpuE8ELNS1_3repE0EEENS1_30default_config_static_selectorELNS0_4arch9wavefront6targetE0EEEvT1_, .Lfunc_end58-_ZN7rocprim17ROCPRIM_400000_NS6detail17trampoline_kernelINS0_14default_configENS1_25transform_config_selectorImLb0EEEZNS1_14transform_implILb0ES3_S5_NS0_17constant_iteratorImlEEPmNS0_8identityImEEEE10hipError_tT2_T3_mT4_P12ihipStream_tbEUlT_E_NS1_11comp_targetILNS1_3genE4ELNS1_11target_archE910ELNS1_3gpuE8ELNS1_3repE0EEENS1_30default_config_static_selectorELNS0_4arch9wavefront6targetE0EEEvT1_
                                        ; -- End function
	.set _ZN7rocprim17ROCPRIM_400000_NS6detail17trampoline_kernelINS0_14default_configENS1_25transform_config_selectorImLb0EEEZNS1_14transform_implILb0ES3_S5_NS0_17constant_iteratorImlEEPmNS0_8identityImEEEE10hipError_tT2_T3_mT4_P12ihipStream_tbEUlT_E_NS1_11comp_targetILNS1_3genE4ELNS1_11target_archE910ELNS1_3gpuE8ELNS1_3repE0EEENS1_30default_config_static_selectorELNS0_4arch9wavefront6targetE0EEEvT1_.num_vgpr, 0
	.set _ZN7rocprim17ROCPRIM_400000_NS6detail17trampoline_kernelINS0_14default_configENS1_25transform_config_selectorImLb0EEEZNS1_14transform_implILb0ES3_S5_NS0_17constant_iteratorImlEEPmNS0_8identityImEEEE10hipError_tT2_T3_mT4_P12ihipStream_tbEUlT_E_NS1_11comp_targetILNS1_3genE4ELNS1_11target_archE910ELNS1_3gpuE8ELNS1_3repE0EEENS1_30default_config_static_selectorELNS0_4arch9wavefront6targetE0EEEvT1_.num_agpr, 0
	.set _ZN7rocprim17ROCPRIM_400000_NS6detail17trampoline_kernelINS0_14default_configENS1_25transform_config_selectorImLb0EEEZNS1_14transform_implILb0ES3_S5_NS0_17constant_iteratorImlEEPmNS0_8identityImEEEE10hipError_tT2_T3_mT4_P12ihipStream_tbEUlT_E_NS1_11comp_targetILNS1_3genE4ELNS1_11target_archE910ELNS1_3gpuE8ELNS1_3repE0EEENS1_30default_config_static_selectorELNS0_4arch9wavefront6targetE0EEEvT1_.numbered_sgpr, 0
	.set _ZN7rocprim17ROCPRIM_400000_NS6detail17trampoline_kernelINS0_14default_configENS1_25transform_config_selectorImLb0EEEZNS1_14transform_implILb0ES3_S5_NS0_17constant_iteratorImlEEPmNS0_8identityImEEEE10hipError_tT2_T3_mT4_P12ihipStream_tbEUlT_E_NS1_11comp_targetILNS1_3genE4ELNS1_11target_archE910ELNS1_3gpuE8ELNS1_3repE0EEENS1_30default_config_static_selectorELNS0_4arch9wavefront6targetE0EEEvT1_.num_named_barrier, 0
	.set _ZN7rocprim17ROCPRIM_400000_NS6detail17trampoline_kernelINS0_14default_configENS1_25transform_config_selectorImLb0EEEZNS1_14transform_implILb0ES3_S5_NS0_17constant_iteratorImlEEPmNS0_8identityImEEEE10hipError_tT2_T3_mT4_P12ihipStream_tbEUlT_E_NS1_11comp_targetILNS1_3genE4ELNS1_11target_archE910ELNS1_3gpuE8ELNS1_3repE0EEENS1_30default_config_static_selectorELNS0_4arch9wavefront6targetE0EEEvT1_.private_seg_size, 0
	.set _ZN7rocprim17ROCPRIM_400000_NS6detail17trampoline_kernelINS0_14default_configENS1_25transform_config_selectorImLb0EEEZNS1_14transform_implILb0ES3_S5_NS0_17constant_iteratorImlEEPmNS0_8identityImEEEE10hipError_tT2_T3_mT4_P12ihipStream_tbEUlT_E_NS1_11comp_targetILNS1_3genE4ELNS1_11target_archE910ELNS1_3gpuE8ELNS1_3repE0EEENS1_30default_config_static_selectorELNS0_4arch9wavefront6targetE0EEEvT1_.uses_vcc, 0
	.set _ZN7rocprim17ROCPRIM_400000_NS6detail17trampoline_kernelINS0_14default_configENS1_25transform_config_selectorImLb0EEEZNS1_14transform_implILb0ES3_S5_NS0_17constant_iteratorImlEEPmNS0_8identityImEEEE10hipError_tT2_T3_mT4_P12ihipStream_tbEUlT_E_NS1_11comp_targetILNS1_3genE4ELNS1_11target_archE910ELNS1_3gpuE8ELNS1_3repE0EEENS1_30default_config_static_selectorELNS0_4arch9wavefront6targetE0EEEvT1_.uses_flat_scratch, 0
	.set _ZN7rocprim17ROCPRIM_400000_NS6detail17trampoline_kernelINS0_14default_configENS1_25transform_config_selectorImLb0EEEZNS1_14transform_implILb0ES3_S5_NS0_17constant_iteratorImlEEPmNS0_8identityImEEEE10hipError_tT2_T3_mT4_P12ihipStream_tbEUlT_E_NS1_11comp_targetILNS1_3genE4ELNS1_11target_archE910ELNS1_3gpuE8ELNS1_3repE0EEENS1_30default_config_static_selectorELNS0_4arch9wavefront6targetE0EEEvT1_.has_dyn_sized_stack, 0
	.set _ZN7rocprim17ROCPRIM_400000_NS6detail17trampoline_kernelINS0_14default_configENS1_25transform_config_selectorImLb0EEEZNS1_14transform_implILb0ES3_S5_NS0_17constant_iteratorImlEEPmNS0_8identityImEEEE10hipError_tT2_T3_mT4_P12ihipStream_tbEUlT_E_NS1_11comp_targetILNS1_3genE4ELNS1_11target_archE910ELNS1_3gpuE8ELNS1_3repE0EEENS1_30default_config_static_selectorELNS0_4arch9wavefront6targetE0EEEvT1_.has_recursion, 0
	.set _ZN7rocprim17ROCPRIM_400000_NS6detail17trampoline_kernelINS0_14default_configENS1_25transform_config_selectorImLb0EEEZNS1_14transform_implILb0ES3_S5_NS0_17constant_iteratorImlEEPmNS0_8identityImEEEE10hipError_tT2_T3_mT4_P12ihipStream_tbEUlT_E_NS1_11comp_targetILNS1_3genE4ELNS1_11target_archE910ELNS1_3gpuE8ELNS1_3repE0EEENS1_30default_config_static_selectorELNS0_4arch9wavefront6targetE0EEEvT1_.has_indirect_call, 0
	.section	.AMDGPU.csdata,"",@progbits
; Kernel info:
; codeLenInByte = 0
; TotalNumSgprs: 0
; NumVgprs: 0
; ScratchSize: 0
; MemoryBound: 0
; FloatMode: 240
; IeeeMode: 1
; LDSByteSize: 0 bytes/workgroup (compile time only)
; SGPRBlocks: 0
; VGPRBlocks: 0
; NumSGPRsForWavesPerEU: 1
; NumVGPRsForWavesPerEU: 1
; Occupancy: 16
; WaveLimiterHint : 0
; COMPUTE_PGM_RSRC2:SCRATCH_EN: 0
; COMPUTE_PGM_RSRC2:USER_SGPR: 6
; COMPUTE_PGM_RSRC2:TRAP_HANDLER: 0
; COMPUTE_PGM_RSRC2:TGID_X_EN: 1
; COMPUTE_PGM_RSRC2:TGID_Y_EN: 0
; COMPUTE_PGM_RSRC2:TGID_Z_EN: 0
; COMPUTE_PGM_RSRC2:TIDIG_COMP_CNT: 0
	.section	.text._ZN7rocprim17ROCPRIM_400000_NS6detail17trampoline_kernelINS0_14default_configENS1_25transform_config_selectorImLb0EEEZNS1_14transform_implILb0ES3_S5_NS0_17constant_iteratorImlEEPmNS0_8identityImEEEE10hipError_tT2_T3_mT4_P12ihipStream_tbEUlT_E_NS1_11comp_targetILNS1_3genE3ELNS1_11target_archE908ELNS1_3gpuE7ELNS1_3repE0EEENS1_30default_config_static_selectorELNS0_4arch9wavefront6targetE0EEEvT1_,"axG",@progbits,_ZN7rocprim17ROCPRIM_400000_NS6detail17trampoline_kernelINS0_14default_configENS1_25transform_config_selectorImLb0EEEZNS1_14transform_implILb0ES3_S5_NS0_17constant_iteratorImlEEPmNS0_8identityImEEEE10hipError_tT2_T3_mT4_P12ihipStream_tbEUlT_E_NS1_11comp_targetILNS1_3genE3ELNS1_11target_archE908ELNS1_3gpuE7ELNS1_3repE0EEENS1_30default_config_static_selectorELNS0_4arch9wavefront6targetE0EEEvT1_,comdat
	.protected	_ZN7rocprim17ROCPRIM_400000_NS6detail17trampoline_kernelINS0_14default_configENS1_25transform_config_selectorImLb0EEEZNS1_14transform_implILb0ES3_S5_NS0_17constant_iteratorImlEEPmNS0_8identityImEEEE10hipError_tT2_T3_mT4_P12ihipStream_tbEUlT_E_NS1_11comp_targetILNS1_3genE3ELNS1_11target_archE908ELNS1_3gpuE7ELNS1_3repE0EEENS1_30default_config_static_selectorELNS0_4arch9wavefront6targetE0EEEvT1_ ; -- Begin function _ZN7rocprim17ROCPRIM_400000_NS6detail17trampoline_kernelINS0_14default_configENS1_25transform_config_selectorImLb0EEEZNS1_14transform_implILb0ES3_S5_NS0_17constant_iteratorImlEEPmNS0_8identityImEEEE10hipError_tT2_T3_mT4_P12ihipStream_tbEUlT_E_NS1_11comp_targetILNS1_3genE3ELNS1_11target_archE908ELNS1_3gpuE7ELNS1_3repE0EEENS1_30default_config_static_selectorELNS0_4arch9wavefront6targetE0EEEvT1_
	.globl	_ZN7rocprim17ROCPRIM_400000_NS6detail17trampoline_kernelINS0_14default_configENS1_25transform_config_selectorImLb0EEEZNS1_14transform_implILb0ES3_S5_NS0_17constant_iteratorImlEEPmNS0_8identityImEEEE10hipError_tT2_T3_mT4_P12ihipStream_tbEUlT_E_NS1_11comp_targetILNS1_3genE3ELNS1_11target_archE908ELNS1_3gpuE7ELNS1_3repE0EEENS1_30default_config_static_selectorELNS0_4arch9wavefront6targetE0EEEvT1_
	.p2align	8
	.type	_ZN7rocprim17ROCPRIM_400000_NS6detail17trampoline_kernelINS0_14default_configENS1_25transform_config_selectorImLb0EEEZNS1_14transform_implILb0ES3_S5_NS0_17constant_iteratorImlEEPmNS0_8identityImEEEE10hipError_tT2_T3_mT4_P12ihipStream_tbEUlT_E_NS1_11comp_targetILNS1_3genE3ELNS1_11target_archE908ELNS1_3gpuE7ELNS1_3repE0EEENS1_30default_config_static_selectorELNS0_4arch9wavefront6targetE0EEEvT1_,@function
_ZN7rocprim17ROCPRIM_400000_NS6detail17trampoline_kernelINS0_14default_configENS1_25transform_config_selectorImLb0EEEZNS1_14transform_implILb0ES3_S5_NS0_17constant_iteratorImlEEPmNS0_8identityImEEEE10hipError_tT2_T3_mT4_P12ihipStream_tbEUlT_E_NS1_11comp_targetILNS1_3genE3ELNS1_11target_archE908ELNS1_3gpuE7ELNS1_3repE0EEENS1_30default_config_static_selectorELNS0_4arch9wavefront6targetE0EEEvT1_: ; @_ZN7rocprim17ROCPRIM_400000_NS6detail17trampoline_kernelINS0_14default_configENS1_25transform_config_selectorImLb0EEEZNS1_14transform_implILb0ES3_S5_NS0_17constant_iteratorImlEEPmNS0_8identityImEEEE10hipError_tT2_T3_mT4_P12ihipStream_tbEUlT_E_NS1_11comp_targetILNS1_3genE3ELNS1_11target_archE908ELNS1_3gpuE7ELNS1_3repE0EEENS1_30default_config_static_selectorELNS0_4arch9wavefront6targetE0EEEvT1_
; %bb.0:
	.section	.rodata,"a",@progbits
	.p2align	6, 0x0
	.amdhsa_kernel _ZN7rocprim17ROCPRIM_400000_NS6detail17trampoline_kernelINS0_14default_configENS1_25transform_config_selectorImLb0EEEZNS1_14transform_implILb0ES3_S5_NS0_17constant_iteratorImlEEPmNS0_8identityImEEEE10hipError_tT2_T3_mT4_P12ihipStream_tbEUlT_E_NS1_11comp_targetILNS1_3genE3ELNS1_11target_archE908ELNS1_3gpuE7ELNS1_3repE0EEENS1_30default_config_static_selectorELNS0_4arch9wavefront6targetE0EEEvT1_
		.amdhsa_group_segment_fixed_size 0
		.amdhsa_private_segment_fixed_size 0
		.amdhsa_kernarg_size 48
		.amdhsa_user_sgpr_count 6
		.amdhsa_user_sgpr_private_segment_buffer 1
		.amdhsa_user_sgpr_dispatch_ptr 0
		.amdhsa_user_sgpr_queue_ptr 0
		.amdhsa_user_sgpr_kernarg_segment_ptr 1
		.amdhsa_user_sgpr_dispatch_id 0
		.amdhsa_user_sgpr_flat_scratch_init 0
		.amdhsa_user_sgpr_private_segment_size 0
		.amdhsa_wavefront_size32 1
		.amdhsa_uses_dynamic_stack 0
		.amdhsa_system_sgpr_private_segment_wavefront_offset 0
		.amdhsa_system_sgpr_workgroup_id_x 1
		.amdhsa_system_sgpr_workgroup_id_y 0
		.amdhsa_system_sgpr_workgroup_id_z 0
		.amdhsa_system_sgpr_workgroup_info 0
		.amdhsa_system_vgpr_workitem_id 0
		.amdhsa_next_free_vgpr 1
		.amdhsa_next_free_sgpr 1
		.amdhsa_reserve_vcc 0
		.amdhsa_reserve_flat_scratch 0
		.amdhsa_float_round_mode_32 0
		.amdhsa_float_round_mode_16_64 0
		.amdhsa_float_denorm_mode_32 3
		.amdhsa_float_denorm_mode_16_64 3
		.amdhsa_dx10_clamp 1
		.amdhsa_ieee_mode 1
		.amdhsa_fp16_overflow 0
		.amdhsa_workgroup_processor_mode 1
		.amdhsa_memory_ordered 1
		.amdhsa_forward_progress 1
		.amdhsa_shared_vgpr_count 0
		.amdhsa_exception_fp_ieee_invalid_op 0
		.amdhsa_exception_fp_denorm_src 0
		.amdhsa_exception_fp_ieee_div_zero 0
		.amdhsa_exception_fp_ieee_overflow 0
		.amdhsa_exception_fp_ieee_underflow 0
		.amdhsa_exception_fp_ieee_inexact 0
		.amdhsa_exception_int_div_zero 0
	.end_amdhsa_kernel
	.section	.text._ZN7rocprim17ROCPRIM_400000_NS6detail17trampoline_kernelINS0_14default_configENS1_25transform_config_selectorImLb0EEEZNS1_14transform_implILb0ES3_S5_NS0_17constant_iteratorImlEEPmNS0_8identityImEEEE10hipError_tT2_T3_mT4_P12ihipStream_tbEUlT_E_NS1_11comp_targetILNS1_3genE3ELNS1_11target_archE908ELNS1_3gpuE7ELNS1_3repE0EEENS1_30default_config_static_selectorELNS0_4arch9wavefront6targetE0EEEvT1_,"axG",@progbits,_ZN7rocprim17ROCPRIM_400000_NS6detail17trampoline_kernelINS0_14default_configENS1_25transform_config_selectorImLb0EEEZNS1_14transform_implILb0ES3_S5_NS0_17constant_iteratorImlEEPmNS0_8identityImEEEE10hipError_tT2_T3_mT4_P12ihipStream_tbEUlT_E_NS1_11comp_targetILNS1_3genE3ELNS1_11target_archE908ELNS1_3gpuE7ELNS1_3repE0EEENS1_30default_config_static_selectorELNS0_4arch9wavefront6targetE0EEEvT1_,comdat
.Lfunc_end59:
	.size	_ZN7rocprim17ROCPRIM_400000_NS6detail17trampoline_kernelINS0_14default_configENS1_25transform_config_selectorImLb0EEEZNS1_14transform_implILb0ES3_S5_NS0_17constant_iteratorImlEEPmNS0_8identityImEEEE10hipError_tT2_T3_mT4_P12ihipStream_tbEUlT_E_NS1_11comp_targetILNS1_3genE3ELNS1_11target_archE908ELNS1_3gpuE7ELNS1_3repE0EEENS1_30default_config_static_selectorELNS0_4arch9wavefront6targetE0EEEvT1_, .Lfunc_end59-_ZN7rocprim17ROCPRIM_400000_NS6detail17trampoline_kernelINS0_14default_configENS1_25transform_config_selectorImLb0EEEZNS1_14transform_implILb0ES3_S5_NS0_17constant_iteratorImlEEPmNS0_8identityImEEEE10hipError_tT2_T3_mT4_P12ihipStream_tbEUlT_E_NS1_11comp_targetILNS1_3genE3ELNS1_11target_archE908ELNS1_3gpuE7ELNS1_3repE0EEENS1_30default_config_static_selectorELNS0_4arch9wavefront6targetE0EEEvT1_
                                        ; -- End function
	.set _ZN7rocprim17ROCPRIM_400000_NS6detail17trampoline_kernelINS0_14default_configENS1_25transform_config_selectorImLb0EEEZNS1_14transform_implILb0ES3_S5_NS0_17constant_iteratorImlEEPmNS0_8identityImEEEE10hipError_tT2_T3_mT4_P12ihipStream_tbEUlT_E_NS1_11comp_targetILNS1_3genE3ELNS1_11target_archE908ELNS1_3gpuE7ELNS1_3repE0EEENS1_30default_config_static_selectorELNS0_4arch9wavefront6targetE0EEEvT1_.num_vgpr, 0
	.set _ZN7rocprim17ROCPRIM_400000_NS6detail17trampoline_kernelINS0_14default_configENS1_25transform_config_selectorImLb0EEEZNS1_14transform_implILb0ES3_S5_NS0_17constant_iteratorImlEEPmNS0_8identityImEEEE10hipError_tT2_T3_mT4_P12ihipStream_tbEUlT_E_NS1_11comp_targetILNS1_3genE3ELNS1_11target_archE908ELNS1_3gpuE7ELNS1_3repE0EEENS1_30default_config_static_selectorELNS0_4arch9wavefront6targetE0EEEvT1_.num_agpr, 0
	.set _ZN7rocprim17ROCPRIM_400000_NS6detail17trampoline_kernelINS0_14default_configENS1_25transform_config_selectorImLb0EEEZNS1_14transform_implILb0ES3_S5_NS0_17constant_iteratorImlEEPmNS0_8identityImEEEE10hipError_tT2_T3_mT4_P12ihipStream_tbEUlT_E_NS1_11comp_targetILNS1_3genE3ELNS1_11target_archE908ELNS1_3gpuE7ELNS1_3repE0EEENS1_30default_config_static_selectorELNS0_4arch9wavefront6targetE0EEEvT1_.numbered_sgpr, 0
	.set _ZN7rocprim17ROCPRIM_400000_NS6detail17trampoline_kernelINS0_14default_configENS1_25transform_config_selectorImLb0EEEZNS1_14transform_implILb0ES3_S5_NS0_17constant_iteratorImlEEPmNS0_8identityImEEEE10hipError_tT2_T3_mT4_P12ihipStream_tbEUlT_E_NS1_11comp_targetILNS1_3genE3ELNS1_11target_archE908ELNS1_3gpuE7ELNS1_3repE0EEENS1_30default_config_static_selectorELNS0_4arch9wavefront6targetE0EEEvT1_.num_named_barrier, 0
	.set _ZN7rocprim17ROCPRIM_400000_NS6detail17trampoline_kernelINS0_14default_configENS1_25transform_config_selectorImLb0EEEZNS1_14transform_implILb0ES3_S5_NS0_17constant_iteratorImlEEPmNS0_8identityImEEEE10hipError_tT2_T3_mT4_P12ihipStream_tbEUlT_E_NS1_11comp_targetILNS1_3genE3ELNS1_11target_archE908ELNS1_3gpuE7ELNS1_3repE0EEENS1_30default_config_static_selectorELNS0_4arch9wavefront6targetE0EEEvT1_.private_seg_size, 0
	.set _ZN7rocprim17ROCPRIM_400000_NS6detail17trampoline_kernelINS0_14default_configENS1_25transform_config_selectorImLb0EEEZNS1_14transform_implILb0ES3_S5_NS0_17constant_iteratorImlEEPmNS0_8identityImEEEE10hipError_tT2_T3_mT4_P12ihipStream_tbEUlT_E_NS1_11comp_targetILNS1_3genE3ELNS1_11target_archE908ELNS1_3gpuE7ELNS1_3repE0EEENS1_30default_config_static_selectorELNS0_4arch9wavefront6targetE0EEEvT1_.uses_vcc, 0
	.set _ZN7rocprim17ROCPRIM_400000_NS6detail17trampoline_kernelINS0_14default_configENS1_25transform_config_selectorImLb0EEEZNS1_14transform_implILb0ES3_S5_NS0_17constant_iteratorImlEEPmNS0_8identityImEEEE10hipError_tT2_T3_mT4_P12ihipStream_tbEUlT_E_NS1_11comp_targetILNS1_3genE3ELNS1_11target_archE908ELNS1_3gpuE7ELNS1_3repE0EEENS1_30default_config_static_selectorELNS0_4arch9wavefront6targetE0EEEvT1_.uses_flat_scratch, 0
	.set _ZN7rocprim17ROCPRIM_400000_NS6detail17trampoline_kernelINS0_14default_configENS1_25transform_config_selectorImLb0EEEZNS1_14transform_implILb0ES3_S5_NS0_17constant_iteratorImlEEPmNS0_8identityImEEEE10hipError_tT2_T3_mT4_P12ihipStream_tbEUlT_E_NS1_11comp_targetILNS1_3genE3ELNS1_11target_archE908ELNS1_3gpuE7ELNS1_3repE0EEENS1_30default_config_static_selectorELNS0_4arch9wavefront6targetE0EEEvT1_.has_dyn_sized_stack, 0
	.set _ZN7rocprim17ROCPRIM_400000_NS6detail17trampoline_kernelINS0_14default_configENS1_25transform_config_selectorImLb0EEEZNS1_14transform_implILb0ES3_S5_NS0_17constant_iteratorImlEEPmNS0_8identityImEEEE10hipError_tT2_T3_mT4_P12ihipStream_tbEUlT_E_NS1_11comp_targetILNS1_3genE3ELNS1_11target_archE908ELNS1_3gpuE7ELNS1_3repE0EEENS1_30default_config_static_selectorELNS0_4arch9wavefront6targetE0EEEvT1_.has_recursion, 0
	.set _ZN7rocprim17ROCPRIM_400000_NS6detail17trampoline_kernelINS0_14default_configENS1_25transform_config_selectorImLb0EEEZNS1_14transform_implILb0ES3_S5_NS0_17constant_iteratorImlEEPmNS0_8identityImEEEE10hipError_tT2_T3_mT4_P12ihipStream_tbEUlT_E_NS1_11comp_targetILNS1_3genE3ELNS1_11target_archE908ELNS1_3gpuE7ELNS1_3repE0EEENS1_30default_config_static_selectorELNS0_4arch9wavefront6targetE0EEEvT1_.has_indirect_call, 0
	.section	.AMDGPU.csdata,"",@progbits
; Kernel info:
; codeLenInByte = 0
; TotalNumSgprs: 0
; NumVgprs: 0
; ScratchSize: 0
; MemoryBound: 0
; FloatMode: 240
; IeeeMode: 1
; LDSByteSize: 0 bytes/workgroup (compile time only)
; SGPRBlocks: 0
; VGPRBlocks: 0
; NumSGPRsForWavesPerEU: 1
; NumVGPRsForWavesPerEU: 1
; Occupancy: 16
; WaveLimiterHint : 0
; COMPUTE_PGM_RSRC2:SCRATCH_EN: 0
; COMPUTE_PGM_RSRC2:USER_SGPR: 6
; COMPUTE_PGM_RSRC2:TRAP_HANDLER: 0
; COMPUTE_PGM_RSRC2:TGID_X_EN: 1
; COMPUTE_PGM_RSRC2:TGID_Y_EN: 0
; COMPUTE_PGM_RSRC2:TGID_Z_EN: 0
; COMPUTE_PGM_RSRC2:TIDIG_COMP_CNT: 0
	.section	.text._ZN7rocprim17ROCPRIM_400000_NS6detail17trampoline_kernelINS0_14default_configENS1_25transform_config_selectorImLb0EEEZNS1_14transform_implILb0ES3_S5_NS0_17constant_iteratorImlEEPmNS0_8identityImEEEE10hipError_tT2_T3_mT4_P12ihipStream_tbEUlT_E_NS1_11comp_targetILNS1_3genE2ELNS1_11target_archE906ELNS1_3gpuE6ELNS1_3repE0EEENS1_30default_config_static_selectorELNS0_4arch9wavefront6targetE0EEEvT1_,"axG",@progbits,_ZN7rocprim17ROCPRIM_400000_NS6detail17trampoline_kernelINS0_14default_configENS1_25transform_config_selectorImLb0EEEZNS1_14transform_implILb0ES3_S5_NS0_17constant_iteratorImlEEPmNS0_8identityImEEEE10hipError_tT2_T3_mT4_P12ihipStream_tbEUlT_E_NS1_11comp_targetILNS1_3genE2ELNS1_11target_archE906ELNS1_3gpuE6ELNS1_3repE0EEENS1_30default_config_static_selectorELNS0_4arch9wavefront6targetE0EEEvT1_,comdat
	.protected	_ZN7rocprim17ROCPRIM_400000_NS6detail17trampoline_kernelINS0_14default_configENS1_25transform_config_selectorImLb0EEEZNS1_14transform_implILb0ES3_S5_NS0_17constant_iteratorImlEEPmNS0_8identityImEEEE10hipError_tT2_T3_mT4_P12ihipStream_tbEUlT_E_NS1_11comp_targetILNS1_3genE2ELNS1_11target_archE906ELNS1_3gpuE6ELNS1_3repE0EEENS1_30default_config_static_selectorELNS0_4arch9wavefront6targetE0EEEvT1_ ; -- Begin function _ZN7rocprim17ROCPRIM_400000_NS6detail17trampoline_kernelINS0_14default_configENS1_25transform_config_selectorImLb0EEEZNS1_14transform_implILb0ES3_S5_NS0_17constant_iteratorImlEEPmNS0_8identityImEEEE10hipError_tT2_T3_mT4_P12ihipStream_tbEUlT_E_NS1_11comp_targetILNS1_3genE2ELNS1_11target_archE906ELNS1_3gpuE6ELNS1_3repE0EEENS1_30default_config_static_selectorELNS0_4arch9wavefront6targetE0EEEvT1_
	.globl	_ZN7rocprim17ROCPRIM_400000_NS6detail17trampoline_kernelINS0_14default_configENS1_25transform_config_selectorImLb0EEEZNS1_14transform_implILb0ES3_S5_NS0_17constant_iteratorImlEEPmNS0_8identityImEEEE10hipError_tT2_T3_mT4_P12ihipStream_tbEUlT_E_NS1_11comp_targetILNS1_3genE2ELNS1_11target_archE906ELNS1_3gpuE6ELNS1_3repE0EEENS1_30default_config_static_selectorELNS0_4arch9wavefront6targetE0EEEvT1_
	.p2align	8
	.type	_ZN7rocprim17ROCPRIM_400000_NS6detail17trampoline_kernelINS0_14default_configENS1_25transform_config_selectorImLb0EEEZNS1_14transform_implILb0ES3_S5_NS0_17constant_iteratorImlEEPmNS0_8identityImEEEE10hipError_tT2_T3_mT4_P12ihipStream_tbEUlT_E_NS1_11comp_targetILNS1_3genE2ELNS1_11target_archE906ELNS1_3gpuE6ELNS1_3repE0EEENS1_30default_config_static_selectorELNS0_4arch9wavefront6targetE0EEEvT1_,@function
_ZN7rocprim17ROCPRIM_400000_NS6detail17trampoline_kernelINS0_14default_configENS1_25transform_config_selectorImLb0EEEZNS1_14transform_implILb0ES3_S5_NS0_17constant_iteratorImlEEPmNS0_8identityImEEEE10hipError_tT2_T3_mT4_P12ihipStream_tbEUlT_E_NS1_11comp_targetILNS1_3genE2ELNS1_11target_archE906ELNS1_3gpuE6ELNS1_3repE0EEENS1_30default_config_static_selectorELNS0_4arch9wavefront6targetE0EEEvT1_: ; @_ZN7rocprim17ROCPRIM_400000_NS6detail17trampoline_kernelINS0_14default_configENS1_25transform_config_selectorImLb0EEEZNS1_14transform_implILb0ES3_S5_NS0_17constant_iteratorImlEEPmNS0_8identityImEEEE10hipError_tT2_T3_mT4_P12ihipStream_tbEUlT_E_NS1_11comp_targetILNS1_3genE2ELNS1_11target_archE906ELNS1_3gpuE6ELNS1_3repE0EEENS1_30default_config_static_selectorELNS0_4arch9wavefront6targetE0EEEvT1_
; %bb.0:
	.section	.rodata,"a",@progbits
	.p2align	6, 0x0
	.amdhsa_kernel _ZN7rocprim17ROCPRIM_400000_NS6detail17trampoline_kernelINS0_14default_configENS1_25transform_config_selectorImLb0EEEZNS1_14transform_implILb0ES3_S5_NS0_17constant_iteratorImlEEPmNS0_8identityImEEEE10hipError_tT2_T3_mT4_P12ihipStream_tbEUlT_E_NS1_11comp_targetILNS1_3genE2ELNS1_11target_archE906ELNS1_3gpuE6ELNS1_3repE0EEENS1_30default_config_static_selectorELNS0_4arch9wavefront6targetE0EEEvT1_
		.amdhsa_group_segment_fixed_size 0
		.amdhsa_private_segment_fixed_size 0
		.amdhsa_kernarg_size 48
		.amdhsa_user_sgpr_count 6
		.amdhsa_user_sgpr_private_segment_buffer 1
		.amdhsa_user_sgpr_dispatch_ptr 0
		.amdhsa_user_sgpr_queue_ptr 0
		.amdhsa_user_sgpr_kernarg_segment_ptr 1
		.amdhsa_user_sgpr_dispatch_id 0
		.amdhsa_user_sgpr_flat_scratch_init 0
		.amdhsa_user_sgpr_private_segment_size 0
		.amdhsa_wavefront_size32 1
		.amdhsa_uses_dynamic_stack 0
		.amdhsa_system_sgpr_private_segment_wavefront_offset 0
		.amdhsa_system_sgpr_workgroup_id_x 1
		.amdhsa_system_sgpr_workgroup_id_y 0
		.amdhsa_system_sgpr_workgroup_id_z 0
		.amdhsa_system_sgpr_workgroup_info 0
		.amdhsa_system_vgpr_workitem_id 0
		.amdhsa_next_free_vgpr 1
		.amdhsa_next_free_sgpr 1
		.amdhsa_reserve_vcc 0
		.amdhsa_reserve_flat_scratch 0
		.amdhsa_float_round_mode_32 0
		.amdhsa_float_round_mode_16_64 0
		.amdhsa_float_denorm_mode_32 3
		.amdhsa_float_denorm_mode_16_64 3
		.amdhsa_dx10_clamp 1
		.amdhsa_ieee_mode 1
		.amdhsa_fp16_overflow 0
		.amdhsa_workgroup_processor_mode 1
		.amdhsa_memory_ordered 1
		.amdhsa_forward_progress 1
		.amdhsa_shared_vgpr_count 0
		.amdhsa_exception_fp_ieee_invalid_op 0
		.amdhsa_exception_fp_denorm_src 0
		.amdhsa_exception_fp_ieee_div_zero 0
		.amdhsa_exception_fp_ieee_overflow 0
		.amdhsa_exception_fp_ieee_underflow 0
		.amdhsa_exception_fp_ieee_inexact 0
		.amdhsa_exception_int_div_zero 0
	.end_amdhsa_kernel
	.section	.text._ZN7rocprim17ROCPRIM_400000_NS6detail17trampoline_kernelINS0_14default_configENS1_25transform_config_selectorImLb0EEEZNS1_14transform_implILb0ES3_S5_NS0_17constant_iteratorImlEEPmNS0_8identityImEEEE10hipError_tT2_T3_mT4_P12ihipStream_tbEUlT_E_NS1_11comp_targetILNS1_3genE2ELNS1_11target_archE906ELNS1_3gpuE6ELNS1_3repE0EEENS1_30default_config_static_selectorELNS0_4arch9wavefront6targetE0EEEvT1_,"axG",@progbits,_ZN7rocprim17ROCPRIM_400000_NS6detail17trampoline_kernelINS0_14default_configENS1_25transform_config_selectorImLb0EEEZNS1_14transform_implILb0ES3_S5_NS0_17constant_iteratorImlEEPmNS0_8identityImEEEE10hipError_tT2_T3_mT4_P12ihipStream_tbEUlT_E_NS1_11comp_targetILNS1_3genE2ELNS1_11target_archE906ELNS1_3gpuE6ELNS1_3repE0EEENS1_30default_config_static_selectorELNS0_4arch9wavefront6targetE0EEEvT1_,comdat
.Lfunc_end60:
	.size	_ZN7rocprim17ROCPRIM_400000_NS6detail17trampoline_kernelINS0_14default_configENS1_25transform_config_selectorImLb0EEEZNS1_14transform_implILb0ES3_S5_NS0_17constant_iteratorImlEEPmNS0_8identityImEEEE10hipError_tT2_T3_mT4_P12ihipStream_tbEUlT_E_NS1_11comp_targetILNS1_3genE2ELNS1_11target_archE906ELNS1_3gpuE6ELNS1_3repE0EEENS1_30default_config_static_selectorELNS0_4arch9wavefront6targetE0EEEvT1_, .Lfunc_end60-_ZN7rocprim17ROCPRIM_400000_NS6detail17trampoline_kernelINS0_14default_configENS1_25transform_config_selectorImLb0EEEZNS1_14transform_implILb0ES3_S5_NS0_17constant_iteratorImlEEPmNS0_8identityImEEEE10hipError_tT2_T3_mT4_P12ihipStream_tbEUlT_E_NS1_11comp_targetILNS1_3genE2ELNS1_11target_archE906ELNS1_3gpuE6ELNS1_3repE0EEENS1_30default_config_static_selectorELNS0_4arch9wavefront6targetE0EEEvT1_
                                        ; -- End function
	.set _ZN7rocprim17ROCPRIM_400000_NS6detail17trampoline_kernelINS0_14default_configENS1_25transform_config_selectorImLb0EEEZNS1_14transform_implILb0ES3_S5_NS0_17constant_iteratorImlEEPmNS0_8identityImEEEE10hipError_tT2_T3_mT4_P12ihipStream_tbEUlT_E_NS1_11comp_targetILNS1_3genE2ELNS1_11target_archE906ELNS1_3gpuE6ELNS1_3repE0EEENS1_30default_config_static_selectorELNS0_4arch9wavefront6targetE0EEEvT1_.num_vgpr, 0
	.set _ZN7rocprim17ROCPRIM_400000_NS6detail17trampoline_kernelINS0_14default_configENS1_25transform_config_selectorImLb0EEEZNS1_14transform_implILb0ES3_S5_NS0_17constant_iteratorImlEEPmNS0_8identityImEEEE10hipError_tT2_T3_mT4_P12ihipStream_tbEUlT_E_NS1_11comp_targetILNS1_3genE2ELNS1_11target_archE906ELNS1_3gpuE6ELNS1_3repE0EEENS1_30default_config_static_selectorELNS0_4arch9wavefront6targetE0EEEvT1_.num_agpr, 0
	.set _ZN7rocprim17ROCPRIM_400000_NS6detail17trampoline_kernelINS0_14default_configENS1_25transform_config_selectorImLb0EEEZNS1_14transform_implILb0ES3_S5_NS0_17constant_iteratorImlEEPmNS0_8identityImEEEE10hipError_tT2_T3_mT4_P12ihipStream_tbEUlT_E_NS1_11comp_targetILNS1_3genE2ELNS1_11target_archE906ELNS1_3gpuE6ELNS1_3repE0EEENS1_30default_config_static_selectorELNS0_4arch9wavefront6targetE0EEEvT1_.numbered_sgpr, 0
	.set _ZN7rocprim17ROCPRIM_400000_NS6detail17trampoline_kernelINS0_14default_configENS1_25transform_config_selectorImLb0EEEZNS1_14transform_implILb0ES3_S5_NS0_17constant_iteratorImlEEPmNS0_8identityImEEEE10hipError_tT2_T3_mT4_P12ihipStream_tbEUlT_E_NS1_11comp_targetILNS1_3genE2ELNS1_11target_archE906ELNS1_3gpuE6ELNS1_3repE0EEENS1_30default_config_static_selectorELNS0_4arch9wavefront6targetE0EEEvT1_.num_named_barrier, 0
	.set _ZN7rocprim17ROCPRIM_400000_NS6detail17trampoline_kernelINS0_14default_configENS1_25transform_config_selectorImLb0EEEZNS1_14transform_implILb0ES3_S5_NS0_17constant_iteratorImlEEPmNS0_8identityImEEEE10hipError_tT2_T3_mT4_P12ihipStream_tbEUlT_E_NS1_11comp_targetILNS1_3genE2ELNS1_11target_archE906ELNS1_3gpuE6ELNS1_3repE0EEENS1_30default_config_static_selectorELNS0_4arch9wavefront6targetE0EEEvT1_.private_seg_size, 0
	.set _ZN7rocprim17ROCPRIM_400000_NS6detail17trampoline_kernelINS0_14default_configENS1_25transform_config_selectorImLb0EEEZNS1_14transform_implILb0ES3_S5_NS0_17constant_iteratorImlEEPmNS0_8identityImEEEE10hipError_tT2_T3_mT4_P12ihipStream_tbEUlT_E_NS1_11comp_targetILNS1_3genE2ELNS1_11target_archE906ELNS1_3gpuE6ELNS1_3repE0EEENS1_30default_config_static_selectorELNS0_4arch9wavefront6targetE0EEEvT1_.uses_vcc, 0
	.set _ZN7rocprim17ROCPRIM_400000_NS6detail17trampoline_kernelINS0_14default_configENS1_25transform_config_selectorImLb0EEEZNS1_14transform_implILb0ES3_S5_NS0_17constant_iteratorImlEEPmNS0_8identityImEEEE10hipError_tT2_T3_mT4_P12ihipStream_tbEUlT_E_NS1_11comp_targetILNS1_3genE2ELNS1_11target_archE906ELNS1_3gpuE6ELNS1_3repE0EEENS1_30default_config_static_selectorELNS0_4arch9wavefront6targetE0EEEvT1_.uses_flat_scratch, 0
	.set _ZN7rocprim17ROCPRIM_400000_NS6detail17trampoline_kernelINS0_14default_configENS1_25transform_config_selectorImLb0EEEZNS1_14transform_implILb0ES3_S5_NS0_17constant_iteratorImlEEPmNS0_8identityImEEEE10hipError_tT2_T3_mT4_P12ihipStream_tbEUlT_E_NS1_11comp_targetILNS1_3genE2ELNS1_11target_archE906ELNS1_3gpuE6ELNS1_3repE0EEENS1_30default_config_static_selectorELNS0_4arch9wavefront6targetE0EEEvT1_.has_dyn_sized_stack, 0
	.set _ZN7rocprim17ROCPRIM_400000_NS6detail17trampoline_kernelINS0_14default_configENS1_25transform_config_selectorImLb0EEEZNS1_14transform_implILb0ES3_S5_NS0_17constant_iteratorImlEEPmNS0_8identityImEEEE10hipError_tT2_T3_mT4_P12ihipStream_tbEUlT_E_NS1_11comp_targetILNS1_3genE2ELNS1_11target_archE906ELNS1_3gpuE6ELNS1_3repE0EEENS1_30default_config_static_selectorELNS0_4arch9wavefront6targetE0EEEvT1_.has_recursion, 0
	.set _ZN7rocprim17ROCPRIM_400000_NS6detail17trampoline_kernelINS0_14default_configENS1_25transform_config_selectorImLb0EEEZNS1_14transform_implILb0ES3_S5_NS0_17constant_iteratorImlEEPmNS0_8identityImEEEE10hipError_tT2_T3_mT4_P12ihipStream_tbEUlT_E_NS1_11comp_targetILNS1_3genE2ELNS1_11target_archE906ELNS1_3gpuE6ELNS1_3repE0EEENS1_30default_config_static_selectorELNS0_4arch9wavefront6targetE0EEEvT1_.has_indirect_call, 0
	.section	.AMDGPU.csdata,"",@progbits
; Kernel info:
; codeLenInByte = 0
; TotalNumSgprs: 0
; NumVgprs: 0
; ScratchSize: 0
; MemoryBound: 0
; FloatMode: 240
; IeeeMode: 1
; LDSByteSize: 0 bytes/workgroup (compile time only)
; SGPRBlocks: 0
; VGPRBlocks: 0
; NumSGPRsForWavesPerEU: 1
; NumVGPRsForWavesPerEU: 1
; Occupancy: 16
; WaveLimiterHint : 0
; COMPUTE_PGM_RSRC2:SCRATCH_EN: 0
; COMPUTE_PGM_RSRC2:USER_SGPR: 6
; COMPUTE_PGM_RSRC2:TRAP_HANDLER: 0
; COMPUTE_PGM_RSRC2:TGID_X_EN: 1
; COMPUTE_PGM_RSRC2:TGID_Y_EN: 0
; COMPUTE_PGM_RSRC2:TGID_Z_EN: 0
; COMPUTE_PGM_RSRC2:TIDIG_COMP_CNT: 0
	.section	.text._ZN7rocprim17ROCPRIM_400000_NS6detail17trampoline_kernelINS0_14default_configENS1_25transform_config_selectorImLb0EEEZNS1_14transform_implILb0ES3_S5_NS0_17constant_iteratorImlEEPmNS0_8identityImEEEE10hipError_tT2_T3_mT4_P12ihipStream_tbEUlT_E_NS1_11comp_targetILNS1_3genE10ELNS1_11target_archE1201ELNS1_3gpuE5ELNS1_3repE0EEENS1_30default_config_static_selectorELNS0_4arch9wavefront6targetE0EEEvT1_,"axG",@progbits,_ZN7rocprim17ROCPRIM_400000_NS6detail17trampoline_kernelINS0_14default_configENS1_25transform_config_selectorImLb0EEEZNS1_14transform_implILb0ES3_S5_NS0_17constant_iteratorImlEEPmNS0_8identityImEEEE10hipError_tT2_T3_mT4_P12ihipStream_tbEUlT_E_NS1_11comp_targetILNS1_3genE10ELNS1_11target_archE1201ELNS1_3gpuE5ELNS1_3repE0EEENS1_30default_config_static_selectorELNS0_4arch9wavefront6targetE0EEEvT1_,comdat
	.protected	_ZN7rocprim17ROCPRIM_400000_NS6detail17trampoline_kernelINS0_14default_configENS1_25transform_config_selectorImLb0EEEZNS1_14transform_implILb0ES3_S5_NS0_17constant_iteratorImlEEPmNS0_8identityImEEEE10hipError_tT2_T3_mT4_P12ihipStream_tbEUlT_E_NS1_11comp_targetILNS1_3genE10ELNS1_11target_archE1201ELNS1_3gpuE5ELNS1_3repE0EEENS1_30default_config_static_selectorELNS0_4arch9wavefront6targetE0EEEvT1_ ; -- Begin function _ZN7rocprim17ROCPRIM_400000_NS6detail17trampoline_kernelINS0_14default_configENS1_25transform_config_selectorImLb0EEEZNS1_14transform_implILb0ES3_S5_NS0_17constant_iteratorImlEEPmNS0_8identityImEEEE10hipError_tT2_T3_mT4_P12ihipStream_tbEUlT_E_NS1_11comp_targetILNS1_3genE10ELNS1_11target_archE1201ELNS1_3gpuE5ELNS1_3repE0EEENS1_30default_config_static_selectorELNS0_4arch9wavefront6targetE0EEEvT1_
	.globl	_ZN7rocprim17ROCPRIM_400000_NS6detail17trampoline_kernelINS0_14default_configENS1_25transform_config_selectorImLb0EEEZNS1_14transform_implILb0ES3_S5_NS0_17constant_iteratorImlEEPmNS0_8identityImEEEE10hipError_tT2_T3_mT4_P12ihipStream_tbEUlT_E_NS1_11comp_targetILNS1_3genE10ELNS1_11target_archE1201ELNS1_3gpuE5ELNS1_3repE0EEENS1_30default_config_static_selectorELNS0_4arch9wavefront6targetE0EEEvT1_
	.p2align	8
	.type	_ZN7rocprim17ROCPRIM_400000_NS6detail17trampoline_kernelINS0_14default_configENS1_25transform_config_selectorImLb0EEEZNS1_14transform_implILb0ES3_S5_NS0_17constant_iteratorImlEEPmNS0_8identityImEEEE10hipError_tT2_T3_mT4_P12ihipStream_tbEUlT_E_NS1_11comp_targetILNS1_3genE10ELNS1_11target_archE1201ELNS1_3gpuE5ELNS1_3repE0EEENS1_30default_config_static_selectorELNS0_4arch9wavefront6targetE0EEEvT1_,@function
_ZN7rocprim17ROCPRIM_400000_NS6detail17trampoline_kernelINS0_14default_configENS1_25transform_config_selectorImLb0EEEZNS1_14transform_implILb0ES3_S5_NS0_17constant_iteratorImlEEPmNS0_8identityImEEEE10hipError_tT2_T3_mT4_P12ihipStream_tbEUlT_E_NS1_11comp_targetILNS1_3genE10ELNS1_11target_archE1201ELNS1_3gpuE5ELNS1_3repE0EEENS1_30default_config_static_selectorELNS0_4arch9wavefront6targetE0EEEvT1_: ; @_ZN7rocprim17ROCPRIM_400000_NS6detail17trampoline_kernelINS0_14default_configENS1_25transform_config_selectorImLb0EEEZNS1_14transform_implILb0ES3_S5_NS0_17constant_iteratorImlEEPmNS0_8identityImEEEE10hipError_tT2_T3_mT4_P12ihipStream_tbEUlT_E_NS1_11comp_targetILNS1_3genE10ELNS1_11target_archE1201ELNS1_3gpuE5ELNS1_3repE0EEENS1_30default_config_static_selectorELNS0_4arch9wavefront6targetE0EEEvT1_
; %bb.0:
	.section	.rodata,"a",@progbits
	.p2align	6, 0x0
	.amdhsa_kernel _ZN7rocprim17ROCPRIM_400000_NS6detail17trampoline_kernelINS0_14default_configENS1_25transform_config_selectorImLb0EEEZNS1_14transform_implILb0ES3_S5_NS0_17constant_iteratorImlEEPmNS0_8identityImEEEE10hipError_tT2_T3_mT4_P12ihipStream_tbEUlT_E_NS1_11comp_targetILNS1_3genE10ELNS1_11target_archE1201ELNS1_3gpuE5ELNS1_3repE0EEENS1_30default_config_static_selectorELNS0_4arch9wavefront6targetE0EEEvT1_
		.amdhsa_group_segment_fixed_size 0
		.amdhsa_private_segment_fixed_size 0
		.amdhsa_kernarg_size 48
		.amdhsa_user_sgpr_count 6
		.amdhsa_user_sgpr_private_segment_buffer 1
		.amdhsa_user_sgpr_dispatch_ptr 0
		.amdhsa_user_sgpr_queue_ptr 0
		.amdhsa_user_sgpr_kernarg_segment_ptr 1
		.amdhsa_user_sgpr_dispatch_id 0
		.amdhsa_user_sgpr_flat_scratch_init 0
		.amdhsa_user_sgpr_private_segment_size 0
		.amdhsa_wavefront_size32 1
		.amdhsa_uses_dynamic_stack 0
		.amdhsa_system_sgpr_private_segment_wavefront_offset 0
		.amdhsa_system_sgpr_workgroup_id_x 1
		.amdhsa_system_sgpr_workgroup_id_y 0
		.amdhsa_system_sgpr_workgroup_id_z 0
		.amdhsa_system_sgpr_workgroup_info 0
		.amdhsa_system_vgpr_workitem_id 0
		.amdhsa_next_free_vgpr 1
		.amdhsa_next_free_sgpr 1
		.amdhsa_reserve_vcc 0
		.amdhsa_reserve_flat_scratch 0
		.amdhsa_float_round_mode_32 0
		.amdhsa_float_round_mode_16_64 0
		.amdhsa_float_denorm_mode_32 3
		.amdhsa_float_denorm_mode_16_64 3
		.amdhsa_dx10_clamp 1
		.amdhsa_ieee_mode 1
		.amdhsa_fp16_overflow 0
		.amdhsa_workgroup_processor_mode 1
		.amdhsa_memory_ordered 1
		.amdhsa_forward_progress 1
		.amdhsa_shared_vgpr_count 0
		.amdhsa_exception_fp_ieee_invalid_op 0
		.amdhsa_exception_fp_denorm_src 0
		.amdhsa_exception_fp_ieee_div_zero 0
		.amdhsa_exception_fp_ieee_overflow 0
		.amdhsa_exception_fp_ieee_underflow 0
		.amdhsa_exception_fp_ieee_inexact 0
		.amdhsa_exception_int_div_zero 0
	.end_amdhsa_kernel
	.section	.text._ZN7rocprim17ROCPRIM_400000_NS6detail17trampoline_kernelINS0_14default_configENS1_25transform_config_selectorImLb0EEEZNS1_14transform_implILb0ES3_S5_NS0_17constant_iteratorImlEEPmNS0_8identityImEEEE10hipError_tT2_T3_mT4_P12ihipStream_tbEUlT_E_NS1_11comp_targetILNS1_3genE10ELNS1_11target_archE1201ELNS1_3gpuE5ELNS1_3repE0EEENS1_30default_config_static_selectorELNS0_4arch9wavefront6targetE0EEEvT1_,"axG",@progbits,_ZN7rocprim17ROCPRIM_400000_NS6detail17trampoline_kernelINS0_14default_configENS1_25transform_config_selectorImLb0EEEZNS1_14transform_implILb0ES3_S5_NS0_17constant_iteratorImlEEPmNS0_8identityImEEEE10hipError_tT2_T3_mT4_P12ihipStream_tbEUlT_E_NS1_11comp_targetILNS1_3genE10ELNS1_11target_archE1201ELNS1_3gpuE5ELNS1_3repE0EEENS1_30default_config_static_selectorELNS0_4arch9wavefront6targetE0EEEvT1_,comdat
.Lfunc_end61:
	.size	_ZN7rocprim17ROCPRIM_400000_NS6detail17trampoline_kernelINS0_14default_configENS1_25transform_config_selectorImLb0EEEZNS1_14transform_implILb0ES3_S5_NS0_17constant_iteratorImlEEPmNS0_8identityImEEEE10hipError_tT2_T3_mT4_P12ihipStream_tbEUlT_E_NS1_11comp_targetILNS1_3genE10ELNS1_11target_archE1201ELNS1_3gpuE5ELNS1_3repE0EEENS1_30default_config_static_selectorELNS0_4arch9wavefront6targetE0EEEvT1_, .Lfunc_end61-_ZN7rocprim17ROCPRIM_400000_NS6detail17trampoline_kernelINS0_14default_configENS1_25transform_config_selectorImLb0EEEZNS1_14transform_implILb0ES3_S5_NS0_17constant_iteratorImlEEPmNS0_8identityImEEEE10hipError_tT2_T3_mT4_P12ihipStream_tbEUlT_E_NS1_11comp_targetILNS1_3genE10ELNS1_11target_archE1201ELNS1_3gpuE5ELNS1_3repE0EEENS1_30default_config_static_selectorELNS0_4arch9wavefront6targetE0EEEvT1_
                                        ; -- End function
	.set _ZN7rocprim17ROCPRIM_400000_NS6detail17trampoline_kernelINS0_14default_configENS1_25transform_config_selectorImLb0EEEZNS1_14transform_implILb0ES3_S5_NS0_17constant_iteratorImlEEPmNS0_8identityImEEEE10hipError_tT2_T3_mT4_P12ihipStream_tbEUlT_E_NS1_11comp_targetILNS1_3genE10ELNS1_11target_archE1201ELNS1_3gpuE5ELNS1_3repE0EEENS1_30default_config_static_selectorELNS0_4arch9wavefront6targetE0EEEvT1_.num_vgpr, 0
	.set _ZN7rocprim17ROCPRIM_400000_NS6detail17trampoline_kernelINS0_14default_configENS1_25transform_config_selectorImLb0EEEZNS1_14transform_implILb0ES3_S5_NS0_17constant_iteratorImlEEPmNS0_8identityImEEEE10hipError_tT2_T3_mT4_P12ihipStream_tbEUlT_E_NS1_11comp_targetILNS1_3genE10ELNS1_11target_archE1201ELNS1_3gpuE5ELNS1_3repE0EEENS1_30default_config_static_selectorELNS0_4arch9wavefront6targetE0EEEvT1_.num_agpr, 0
	.set _ZN7rocprim17ROCPRIM_400000_NS6detail17trampoline_kernelINS0_14default_configENS1_25transform_config_selectorImLb0EEEZNS1_14transform_implILb0ES3_S5_NS0_17constant_iteratorImlEEPmNS0_8identityImEEEE10hipError_tT2_T3_mT4_P12ihipStream_tbEUlT_E_NS1_11comp_targetILNS1_3genE10ELNS1_11target_archE1201ELNS1_3gpuE5ELNS1_3repE0EEENS1_30default_config_static_selectorELNS0_4arch9wavefront6targetE0EEEvT1_.numbered_sgpr, 0
	.set _ZN7rocprim17ROCPRIM_400000_NS6detail17trampoline_kernelINS0_14default_configENS1_25transform_config_selectorImLb0EEEZNS1_14transform_implILb0ES3_S5_NS0_17constant_iteratorImlEEPmNS0_8identityImEEEE10hipError_tT2_T3_mT4_P12ihipStream_tbEUlT_E_NS1_11comp_targetILNS1_3genE10ELNS1_11target_archE1201ELNS1_3gpuE5ELNS1_3repE0EEENS1_30default_config_static_selectorELNS0_4arch9wavefront6targetE0EEEvT1_.num_named_barrier, 0
	.set _ZN7rocprim17ROCPRIM_400000_NS6detail17trampoline_kernelINS0_14default_configENS1_25transform_config_selectorImLb0EEEZNS1_14transform_implILb0ES3_S5_NS0_17constant_iteratorImlEEPmNS0_8identityImEEEE10hipError_tT2_T3_mT4_P12ihipStream_tbEUlT_E_NS1_11comp_targetILNS1_3genE10ELNS1_11target_archE1201ELNS1_3gpuE5ELNS1_3repE0EEENS1_30default_config_static_selectorELNS0_4arch9wavefront6targetE0EEEvT1_.private_seg_size, 0
	.set _ZN7rocprim17ROCPRIM_400000_NS6detail17trampoline_kernelINS0_14default_configENS1_25transform_config_selectorImLb0EEEZNS1_14transform_implILb0ES3_S5_NS0_17constant_iteratorImlEEPmNS0_8identityImEEEE10hipError_tT2_T3_mT4_P12ihipStream_tbEUlT_E_NS1_11comp_targetILNS1_3genE10ELNS1_11target_archE1201ELNS1_3gpuE5ELNS1_3repE0EEENS1_30default_config_static_selectorELNS0_4arch9wavefront6targetE0EEEvT1_.uses_vcc, 0
	.set _ZN7rocprim17ROCPRIM_400000_NS6detail17trampoline_kernelINS0_14default_configENS1_25transform_config_selectorImLb0EEEZNS1_14transform_implILb0ES3_S5_NS0_17constant_iteratorImlEEPmNS0_8identityImEEEE10hipError_tT2_T3_mT4_P12ihipStream_tbEUlT_E_NS1_11comp_targetILNS1_3genE10ELNS1_11target_archE1201ELNS1_3gpuE5ELNS1_3repE0EEENS1_30default_config_static_selectorELNS0_4arch9wavefront6targetE0EEEvT1_.uses_flat_scratch, 0
	.set _ZN7rocprim17ROCPRIM_400000_NS6detail17trampoline_kernelINS0_14default_configENS1_25transform_config_selectorImLb0EEEZNS1_14transform_implILb0ES3_S5_NS0_17constant_iteratorImlEEPmNS0_8identityImEEEE10hipError_tT2_T3_mT4_P12ihipStream_tbEUlT_E_NS1_11comp_targetILNS1_3genE10ELNS1_11target_archE1201ELNS1_3gpuE5ELNS1_3repE0EEENS1_30default_config_static_selectorELNS0_4arch9wavefront6targetE0EEEvT1_.has_dyn_sized_stack, 0
	.set _ZN7rocprim17ROCPRIM_400000_NS6detail17trampoline_kernelINS0_14default_configENS1_25transform_config_selectorImLb0EEEZNS1_14transform_implILb0ES3_S5_NS0_17constant_iteratorImlEEPmNS0_8identityImEEEE10hipError_tT2_T3_mT4_P12ihipStream_tbEUlT_E_NS1_11comp_targetILNS1_3genE10ELNS1_11target_archE1201ELNS1_3gpuE5ELNS1_3repE0EEENS1_30default_config_static_selectorELNS0_4arch9wavefront6targetE0EEEvT1_.has_recursion, 0
	.set _ZN7rocprim17ROCPRIM_400000_NS6detail17trampoline_kernelINS0_14default_configENS1_25transform_config_selectorImLb0EEEZNS1_14transform_implILb0ES3_S5_NS0_17constant_iteratorImlEEPmNS0_8identityImEEEE10hipError_tT2_T3_mT4_P12ihipStream_tbEUlT_E_NS1_11comp_targetILNS1_3genE10ELNS1_11target_archE1201ELNS1_3gpuE5ELNS1_3repE0EEENS1_30default_config_static_selectorELNS0_4arch9wavefront6targetE0EEEvT1_.has_indirect_call, 0
	.section	.AMDGPU.csdata,"",@progbits
; Kernel info:
; codeLenInByte = 0
; TotalNumSgprs: 0
; NumVgprs: 0
; ScratchSize: 0
; MemoryBound: 0
; FloatMode: 240
; IeeeMode: 1
; LDSByteSize: 0 bytes/workgroup (compile time only)
; SGPRBlocks: 0
; VGPRBlocks: 0
; NumSGPRsForWavesPerEU: 1
; NumVGPRsForWavesPerEU: 1
; Occupancy: 16
; WaveLimiterHint : 0
; COMPUTE_PGM_RSRC2:SCRATCH_EN: 0
; COMPUTE_PGM_RSRC2:USER_SGPR: 6
; COMPUTE_PGM_RSRC2:TRAP_HANDLER: 0
; COMPUTE_PGM_RSRC2:TGID_X_EN: 1
; COMPUTE_PGM_RSRC2:TGID_Y_EN: 0
; COMPUTE_PGM_RSRC2:TGID_Z_EN: 0
; COMPUTE_PGM_RSRC2:TIDIG_COMP_CNT: 0
	.section	.text._ZN7rocprim17ROCPRIM_400000_NS6detail17trampoline_kernelINS0_14default_configENS1_25transform_config_selectorImLb0EEEZNS1_14transform_implILb0ES3_S5_NS0_17constant_iteratorImlEEPmNS0_8identityImEEEE10hipError_tT2_T3_mT4_P12ihipStream_tbEUlT_E_NS1_11comp_targetILNS1_3genE10ELNS1_11target_archE1200ELNS1_3gpuE4ELNS1_3repE0EEENS1_30default_config_static_selectorELNS0_4arch9wavefront6targetE0EEEvT1_,"axG",@progbits,_ZN7rocprim17ROCPRIM_400000_NS6detail17trampoline_kernelINS0_14default_configENS1_25transform_config_selectorImLb0EEEZNS1_14transform_implILb0ES3_S5_NS0_17constant_iteratorImlEEPmNS0_8identityImEEEE10hipError_tT2_T3_mT4_P12ihipStream_tbEUlT_E_NS1_11comp_targetILNS1_3genE10ELNS1_11target_archE1200ELNS1_3gpuE4ELNS1_3repE0EEENS1_30default_config_static_selectorELNS0_4arch9wavefront6targetE0EEEvT1_,comdat
	.protected	_ZN7rocprim17ROCPRIM_400000_NS6detail17trampoline_kernelINS0_14default_configENS1_25transform_config_selectorImLb0EEEZNS1_14transform_implILb0ES3_S5_NS0_17constant_iteratorImlEEPmNS0_8identityImEEEE10hipError_tT2_T3_mT4_P12ihipStream_tbEUlT_E_NS1_11comp_targetILNS1_3genE10ELNS1_11target_archE1200ELNS1_3gpuE4ELNS1_3repE0EEENS1_30default_config_static_selectorELNS0_4arch9wavefront6targetE0EEEvT1_ ; -- Begin function _ZN7rocprim17ROCPRIM_400000_NS6detail17trampoline_kernelINS0_14default_configENS1_25transform_config_selectorImLb0EEEZNS1_14transform_implILb0ES3_S5_NS0_17constant_iteratorImlEEPmNS0_8identityImEEEE10hipError_tT2_T3_mT4_P12ihipStream_tbEUlT_E_NS1_11comp_targetILNS1_3genE10ELNS1_11target_archE1200ELNS1_3gpuE4ELNS1_3repE0EEENS1_30default_config_static_selectorELNS0_4arch9wavefront6targetE0EEEvT1_
	.globl	_ZN7rocprim17ROCPRIM_400000_NS6detail17trampoline_kernelINS0_14default_configENS1_25transform_config_selectorImLb0EEEZNS1_14transform_implILb0ES3_S5_NS0_17constant_iteratorImlEEPmNS0_8identityImEEEE10hipError_tT2_T3_mT4_P12ihipStream_tbEUlT_E_NS1_11comp_targetILNS1_3genE10ELNS1_11target_archE1200ELNS1_3gpuE4ELNS1_3repE0EEENS1_30default_config_static_selectorELNS0_4arch9wavefront6targetE0EEEvT1_
	.p2align	8
	.type	_ZN7rocprim17ROCPRIM_400000_NS6detail17trampoline_kernelINS0_14default_configENS1_25transform_config_selectorImLb0EEEZNS1_14transform_implILb0ES3_S5_NS0_17constant_iteratorImlEEPmNS0_8identityImEEEE10hipError_tT2_T3_mT4_P12ihipStream_tbEUlT_E_NS1_11comp_targetILNS1_3genE10ELNS1_11target_archE1200ELNS1_3gpuE4ELNS1_3repE0EEENS1_30default_config_static_selectorELNS0_4arch9wavefront6targetE0EEEvT1_,@function
_ZN7rocprim17ROCPRIM_400000_NS6detail17trampoline_kernelINS0_14default_configENS1_25transform_config_selectorImLb0EEEZNS1_14transform_implILb0ES3_S5_NS0_17constant_iteratorImlEEPmNS0_8identityImEEEE10hipError_tT2_T3_mT4_P12ihipStream_tbEUlT_E_NS1_11comp_targetILNS1_3genE10ELNS1_11target_archE1200ELNS1_3gpuE4ELNS1_3repE0EEENS1_30default_config_static_selectorELNS0_4arch9wavefront6targetE0EEEvT1_: ; @_ZN7rocprim17ROCPRIM_400000_NS6detail17trampoline_kernelINS0_14default_configENS1_25transform_config_selectorImLb0EEEZNS1_14transform_implILb0ES3_S5_NS0_17constant_iteratorImlEEPmNS0_8identityImEEEE10hipError_tT2_T3_mT4_P12ihipStream_tbEUlT_E_NS1_11comp_targetILNS1_3genE10ELNS1_11target_archE1200ELNS1_3gpuE4ELNS1_3repE0EEENS1_30default_config_static_selectorELNS0_4arch9wavefront6targetE0EEEvT1_
; %bb.0:
	.section	.rodata,"a",@progbits
	.p2align	6, 0x0
	.amdhsa_kernel _ZN7rocprim17ROCPRIM_400000_NS6detail17trampoline_kernelINS0_14default_configENS1_25transform_config_selectorImLb0EEEZNS1_14transform_implILb0ES3_S5_NS0_17constant_iteratorImlEEPmNS0_8identityImEEEE10hipError_tT2_T3_mT4_P12ihipStream_tbEUlT_E_NS1_11comp_targetILNS1_3genE10ELNS1_11target_archE1200ELNS1_3gpuE4ELNS1_3repE0EEENS1_30default_config_static_selectorELNS0_4arch9wavefront6targetE0EEEvT1_
		.amdhsa_group_segment_fixed_size 0
		.amdhsa_private_segment_fixed_size 0
		.amdhsa_kernarg_size 48
		.amdhsa_user_sgpr_count 6
		.amdhsa_user_sgpr_private_segment_buffer 1
		.amdhsa_user_sgpr_dispatch_ptr 0
		.amdhsa_user_sgpr_queue_ptr 0
		.amdhsa_user_sgpr_kernarg_segment_ptr 1
		.amdhsa_user_sgpr_dispatch_id 0
		.amdhsa_user_sgpr_flat_scratch_init 0
		.amdhsa_user_sgpr_private_segment_size 0
		.amdhsa_wavefront_size32 1
		.amdhsa_uses_dynamic_stack 0
		.amdhsa_system_sgpr_private_segment_wavefront_offset 0
		.amdhsa_system_sgpr_workgroup_id_x 1
		.amdhsa_system_sgpr_workgroup_id_y 0
		.amdhsa_system_sgpr_workgroup_id_z 0
		.amdhsa_system_sgpr_workgroup_info 0
		.amdhsa_system_vgpr_workitem_id 0
		.amdhsa_next_free_vgpr 1
		.amdhsa_next_free_sgpr 1
		.amdhsa_reserve_vcc 0
		.amdhsa_reserve_flat_scratch 0
		.amdhsa_float_round_mode_32 0
		.amdhsa_float_round_mode_16_64 0
		.amdhsa_float_denorm_mode_32 3
		.amdhsa_float_denorm_mode_16_64 3
		.amdhsa_dx10_clamp 1
		.amdhsa_ieee_mode 1
		.amdhsa_fp16_overflow 0
		.amdhsa_workgroup_processor_mode 1
		.amdhsa_memory_ordered 1
		.amdhsa_forward_progress 1
		.amdhsa_shared_vgpr_count 0
		.amdhsa_exception_fp_ieee_invalid_op 0
		.amdhsa_exception_fp_denorm_src 0
		.amdhsa_exception_fp_ieee_div_zero 0
		.amdhsa_exception_fp_ieee_overflow 0
		.amdhsa_exception_fp_ieee_underflow 0
		.amdhsa_exception_fp_ieee_inexact 0
		.amdhsa_exception_int_div_zero 0
	.end_amdhsa_kernel
	.section	.text._ZN7rocprim17ROCPRIM_400000_NS6detail17trampoline_kernelINS0_14default_configENS1_25transform_config_selectorImLb0EEEZNS1_14transform_implILb0ES3_S5_NS0_17constant_iteratorImlEEPmNS0_8identityImEEEE10hipError_tT2_T3_mT4_P12ihipStream_tbEUlT_E_NS1_11comp_targetILNS1_3genE10ELNS1_11target_archE1200ELNS1_3gpuE4ELNS1_3repE0EEENS1_30default_config_static_selectorELNS0_4arch9wavefront6targetE0EEEvT1_,"axG",@progbits,_ZN7rocprim17ROCPRIM_400000_NS6detail17trampoline_kernelINS0_14default_configENS1_25transform_config_selectorImLb0EEEZNS1_14transform_implILb0ES3_S5_NS0_17constant_iteratorImlEEPmNS0_8identityImEEEE10hipError_tT2_T3_mT4_P12ihipStream_tbEUlT_E_NS1_11comp_targetILNS1_3genE10ELNS1_11target_archE1200ELNS1_3gpuE4ELNS1_3repE0EEENS1_30default_config_static_selectorELNS0_4arch9wavefront6targetE0EEEvT1_,comdat
.Lfunc_end62:
	.size	_ZN7rocprim17ROCPRIM_400000_NS6detail17trampoline_kernelINS0_14default_configENS1_25transform_config_selectorImLb0EEEZNS1_14transform_implILb0ES3_S5_NS0_17constant_iteratorImlEEPmNS0_8identityImEEEE10hipError_tT2_T3_mT4_P12ihipStream_tbEUlT_E_NS1_11comp_targetILNS1_3genE10ELNS1_11target_archE1200ELNS1_3gpuE4ELNS1_3repE0EEENS1_30default_config_static_selectorELNS0_4arch9wavefront6targetE0EEEvT1_, .Lfunc_end62-_ZN7rocprim17ROCPRIM_400000_NS6detail17trampoline_kernelINS0_14default_configENS1_25transform_config_selectorImLb0EEEZNS1_14transform_implILb0ES3_S5_NS0_17constant_iteratorImlEEPmNS0_8identityImEEEE10hipError_tT2_T3_mT4_P12ihipStream_tbEUlT_E_NS1_11comp_targetILNS1_3genE10ELNS1_11target_archE1200ELNS1_3gpuE4ELNS1_3repE0EEENS1_30default_config_static_selectorELNS0_4arch9wavefront6targetE0EEEvT1_
                                        ; -- End function
	.set _ZN7rocprim17ROCPRIM_400000_NS6detail17trampoline_kernelINS0_14default_configENS1_25transform_config_selectorImLb0EEEZNS1_14transform_implILb0ES3_S5_NS0_17constant_iteratorImlEEPmNS0_8identityImEEEE10hipError_tT2_T3_mT4_P12ihipStream_tbEUlT_E_NS1_11comp_targetILNS1_3genE10ELNS1_11target_archE1200ELNS1_3gpuE4ELNS1_3repE0EEENS1_30default_config_static_selectorELNS0_4arch9wavefront6targetE0EEEvT1_.num_vgpr, 0
	.set _ZN7rocprim17ROCPRIM_400000_NS6detail17trampoline_kernelINS0_14default_configENS1_25transform_config_selectorImLb0EEEZNS1_14transform_implILb0ES3_S5_NS0_17constant_iteratorImlEEPmNS0_8identityImEEEE10hipError_tT2_T3_mT4_P12ihipStream_tbEUlT_E_NS1_11comp_targetILNS1_3genE10ELNS1_11target_archE1200ELNS1_3gpuE4ELNS1_3repE0EEENS1_30default_config_static_selectorELNS0_4arch9wavefront6targetE0EEEvT1_.num_agpr, 0
	.set _ZN7rocprim17ROCPRIM_400000_NS6detail17trampoline_kernelINS0_14default_configENS1_25transform_config_selectorImLb0EEEZNS1_14transform_implILb0ES3_S5_NS0_17constant_iteratorImlEEPmNS0_8identityImEEEE10hipError_tT2_T3_mT4_P12ihipStream_tbEUlT_E_NS1_11comp_targetILNS1_3genE10ELNS1_11target_archE1200ELNS1_3gpuE4ELNS1_3repE0EEENS1_30default_config_static_selectorELNS0_4arch9wavefront6targetE0EEEvT1_.numbered_sgpr, 0
	.set _ZN7rocprim17ROCPRIM_400000_NS6detail17trampoline_kernelINS0_14default_configENS1_25transform_config_selectorImLb0EEEZNS1_14transform_implILb0ES3_S5_NS0_17constant_iteratorImlEEPmNS0_8identityImEEEE10hipError_tT2_T3_mT4_P12ihipStream_tbEUlT_E_NS1_11comp_targetILNS1_3genE10ELNS1_11target_archE1200ELNS1_3gpuE4ELNS1_3repE0EEENS1_30default_config_static_selectorELNS0_4arch9wavefront6targetE0EEEvT1_.num_named_barrier, 0
	.set _ZN7rocprim17ROCPRIM_400000_NS6detail17trampoline_kernelINS0_14default_configENS1_25transform_config_selectorImLb0EEEZNS1_14transform_implILb0ES3_S5_NS0_17constant_iteratorImlEEPmNS0_8identityImEEEE10hipError_tT2_T3_mT4_P12ihipStream_tbEUlT_E_NS1_11comp_targetILNS1_3genE10ELNS1_11target_archE1200ELNS1_3gpuE4ELNS1_3repE0EEENS1_30default_config_static_selectorELNS0_4arch9wavefront6targetE0EEEvT1_.private_seg_size, 0
	.set _ZN7rocprim17ROCPRIM_400000_NS6detail17trampoline_kernelINS0_14default_configENS1_25transform_config_selectorImLb0EEEZNS1_14transform_implILb0ES3_S5_NS0_17constant_iteratorImlEEPmNS0_8identityImEEEE10hipError_tT2_T3_mT4_P12ihipStream_tbEUlT_E_NS1_11comp_targetILNS1_3genE10ELNS1_11target_archE1200ELNS1_3gpuE4ELNS1_3repE0EEENS1_30default_config_static_selectorELNS0_4arch9wavefront6targetE0EEEvT1_.uses_vcc, 0
	.set _ZN7rocprim17ROCPRIM_400000_NS6detail17trampoline_kernelINS0_14default_configENS1_25transform_config_selectorImLb0EEEZNS1_14transform_implILb0ES3_S5_NS0_17constant_iteratorImlEEPmNS0_8identityImEEEE10hipError_tT2_T3_mT4_P12ihipStream_tbEUlT_E_NS1_11comp_targetILNS1_3genE10ELNS1_11target_archE1200ELNS1_3gpuE4ELNS1_3repE0EEENS1_30default_config_static_selectorELNS0_4arch9wavefront6targetE0EEEvT1_.uses_flat_scratch, 0
	.set _ZN7rocprim17ROCPRIM_400000_NS6detail17trampoline_kernelINS0_14default_configENS1_25transform_config_selectorImLb0EEEZNS1_14transform_implILb0ES3_S5_NS0_17constant_iteratorImlEEPmNS0_8identityImEEEE10hipError_tT2_T3_mT4_P12ihipStream_tbEUlT_E_NS1_11comp_targetILNS1_3genE10ELNS1_11target_archE1200ELNS1_3gpuE4ELNS1_3repE0EEENS1_30default_config_static_selectorELNS0_4arch9wavefront6targetE0EEEvT1_.has_dyn_sized_stack, 0
	.set _ZN7rocprim17ROCPRIM_400000_NS6detail17trampoline_kernelINS0_14default_configENS1_25transform_config_selectorImLb0EEEZNS1_14transform_implILb0ES3_S5_NS0_17constant_iteratorImlEEPmNS0_8identityImEEEE10hipError_tT2_T3_mT4_P12ihipStream_tbEUlT_E_NS1_11comp_targetILNS1_3genE10ELNS1_11target_archE1200ELNS1_3gpuE4ELNS1_3repE0EEENS1_30default_config_static_selectorELNS0_4arch9wavefront6targetE0EEEvT1_.has_recursion, 0
	.set _ZN7rocprim17ROCPRIM_400000_NS6detail17trampoline_kernelINS0_14default_configENS1_25transform_config_selectorImLb0EEEZNS1_14transform_implILb0ES3_S5_NS0_17constant_iteratorImlEEPmNS0_8identityImEEEE10hipError_tT2_T3_mT4_P12ihipStream_tbEUlT_E_NS1_11comp_targetILNS1_3genE10ELNS1_11target_archE1200ELNS1_3gpuE4ELNS1_3repE0EEENS1_30default_config_static_selectorELNS0_4arch9wavefront6targetE0EEEvT1_.has_indirect_call, 0
	.section	.AMDGPU.csdata,"",@progbits
; Kernel info:
; codeLenInByte = 0
; TotalNumSgprs: 0
; NumVgprs: 0
; ScratchSize: 0
; MemoryBound: 0
; FloatMode: 240
; IeeeMode: 1
; LDSByteSize: 0 bytes/workgroup (compile time only)
; SGPRBlocks: 0
; VGPRBlocks: 0
; NumSGPRsForWavesPerEU: 1
; NumVGPRsForWavesPerEU: 1
; Occupancy: 16
; WaveLimiterHint : 0
; COMPUTE_PGM_RSRC2:SCRATCH_EN: 0
; COMPUTE_PGM_RSRC2:USER_SGPR: 6
; COMPUTE_PGM_RSRC2:TRAP_HANDLER: 0
; COMPUTE_PGM_RSRC2:TGID_X_EN: 1
; COMPUTE_PGM_RSRC2:TGID_Y_EN: 0
; COMPUTE_PGM_RSRC2:TGID_Z_EN: 0
; COMPUTE_PGM_RSRC2:TIDIG_COMP_CNT: 0
	.section	.text._ZN7rocprim17ROCPRIM_400000_NS6detail17trampoline_kernelINS0_14default_configENS1_25transform_config_selectorImLb0EEEZNS1_14transform_implILb0ES3_S5_NS0_17constant_iteratorImlEEPmNS0_8identityImEEEE10hipError_tT2_T3_mT4_P12ihipStream_tbEUlT_E_NS1_11comp_targetILNS1_3genE9ELNS1_11target_archE1100ELNS1_3gpuE3ELNS1_3repE0EEENS1_30default_config_static_selectorELNS0_4arch9wavefront6targetE0EEEvT1_,"axG",@progbits,_ZN7rocprim17ROCPRIM_400000_NS6detail17trampoline_kernelINS0_14default_configENS1_25transform_config_selectorImLb0EEEZNS1_14transform_implILb0ES3_S5_NS0_17constant_iteratorImlEEPmNS0_8identityImEEEE10hipError_tT2_T3_mT4_P12ihipStream_tbEUlT_E_NS1_11comp_targetILNS1_3genE9ELNS1_11target_archE1100ELNS1_3gpuE3ELNS1_3repE0EEENS1_30default_config_static_selectorELNS0_4arch9wavefront6targetE0EEEvT1_,comdat
	.protected	_ZN7rocprim17ROCPRIM_400000_NS6detail17trampoline_kernelINS0_14default_configENS1_25transform_config_selectorImLb0EEEZNS1_14transform_implILb0ES3_S5_NS0_17constant_iteratorImlEEPmNS0_8identityImEEEE10hipError_tT2_T3_mT4_P12ihipStream_tbEUlT_E_NS1_11comp_targetILNS1_3genE9ELNS1_11target_archE1100ELNS1_3gpuE3ELNS1_3repE0EEENS1_30default_config_static_selectorELNS0_4arch9wavefront6targetE0EEEvT1_ ; -- Begin function _ZN7rocprim17ROCPRIM_400000_NS6detail17trampoline_kernelINS0_14default_configENS1_25transform_config_selectorImLb0EEEZNS1_14transform_implILb0ES3_S5_NS0_17constant_iteratorImlEEPmNS0_8identityImEEEE10hipError_tT2_T3_mT4_P12ihipStream_tbEUlT_E_NS1_11comp_targetILNS1_3genE9ELNS1_11target_archE1100ELNS1_3gpuE3ELNS1_3repE0EEENS1_30default_config_static_selectorELNS0_4arch9wavefront6targetE0EEEvT1_
	.globl	_ZN7rocprim17ROCPRIM_400000_NS6detail17trampoline_kernelINS0_14default_configENS1_25transform_config_selectorImLb0EEEZNS1_14transform_implILb0ES3_S5_NS0_17constant_iteratorImlEEPmNS0_8identityImEEEE10hipError_tT2_T3_mT4_P12ihipStream_tbEUlT_E_NS1_11comp_targetILNS1_3genE9ELNS1_11target_archE1100ELNS1_3gpuE3ELNS1_3repE0EEENS1_30default_config_static_selectorELNS0_4arch9wavefront6targetE0EEEvT1_
	.p2align	8
	.type	_ZN7rocprim17ROCPRIM_400000_NS6detail17trampoline_kernelINS0_14default_configENS1_25transform_config_selectorImLb0EEEZNS1_14transform_implILb0ES3_S5_NS0_17constant_iteratorImlEEPmNS0_8identityImEEEE10hipError_tT2_T3_mT4_P12ihipStream_tbEUlT_E_NS1_11comp_targetILNS1_3genE9ELNS1_11target_archE1100ELNS1_3gpuE3ELNS1_3repE0EEENS1_30default_config_static_selectorELNS0_4arch9wavefront6targetE0EEEvT1_,@function
_ZN7rocprim17ROCPRIM_400000_NS6detail17trampoline_kernelINS0_14default_configENS1_25transform_config_selectorImLb0EEEZNS1_14transform_implILb0ES3_S5_NS0_17constant_iteratorImlEEPmNS0_8identityImEEEE10hipError_tT2_T3_mT4_P12ihipStream_tbEUlT_E_NS1_11comp_targetILNS1_3genE9ELNS1_11target_archE1100ELNS1_3gpuE3ELNS1_3repE0EEENS1_30default_config_static_selectorELNS0_4arch9wavefront6targetE0EEEvT1_: ; @_ZN7rocprim17ROCPRIM_400000_NS6detail17trampoline_kernelINS0_14default_configENS1_25transform_config_selectorImLb0EEEZNS1_14transform_implILb0ES3_S5_NS0_17constant_iteratorImlEEPmNS0_8identityImEEEE10hipError_tT2_T3_mT4_P12ihipStream_tbEUlT_E_NS1_11comp_targetILNS1_3genE9ELNS1_11target_archE1100ELNS1_3gpuE3ELNS1_3repE0EEENS1_30default_config_static_selectorELNS0_4arch9wavefront6targetE0EEEvT1_
; %bb.0:
	.section	.rodata,"a",@progbits
	.p2align	6, 0x0
	.amdhsa_kernel _ZN7rocprim17ROCPRIM_400000_NS6detail17trampoline_kernelINS0_14default_configENS1_25transform_config_selectorImLb0EEEZNS1_14transform_implILb0ES3_S5_NS0_17constant_iteratorImlEEPmNS0_8identityImEEEE10hipError_tT2_T3_mT4_P12ihipStream_tbEUlT_E_NS1_11comp_targetILNS1_3genE9ELNS1_11target_archE1100ELNS1_3gpuE3ELNS1_3repE0EEENS1_30default_config_static_selectorELNS0_4arch9wavefront6targetE0EEEvT1_
		.amdhsa_group_segment_fixed_size 0
		.amdhsa_private_segment_fixed_size 0
		.amdhsa_kernarg_size 48
		.amdhsa_user_sgpr_count 6
		.amdhsa_user_sgpr_private_segment_buffer 1
		.amdhsa_user_sgpr_dispatch_ptr 0
		.amdhsa_user_sgpr_queue_ptr 0
		.amdhsa_user_sgpr_kernarg_segment_ptr 1
		.amdhsa_user_sgpr_dispatch_id 0
		.amdhsa_user_sgpr_flat_scratch_init 0
		.amdhsa_user_sgpr_private_segment_size 0
		.amdhsa_wavefront_size32 1
		.amdhsa_uses_dynamic_stack 0
		.amdhsa_system_sgpr_private_segment_wavefront_offset 0
		.amdhsa_system_sgpr_workgroup_id_x 1
		.amdhsa_system_sgpr_workgroup_id_y 0
		.amdhsa_system_sgpr_workgroup_id_z 0
		.amdhsa_system_sgpr_workgroup_info 0
		.amdhsa_system_vgpr_workitem_id 0
		.amdhsa_next_free_vgpr 1
		.amdhsa_next_free_sgpr 1
		.amdhsa_reserve_vcc 0
		.amdhsa_reserve_flat_scratch 0
		.amdhsa_float_round_mode_32 0
		.amdhsa_float_round_mode_16_64 0
		.amdhsa_float_denorm_mode_32 3
		.amdhsa_float_denorm_mode_16_64 3
		.amdhsa_dx10_clamp 1
		.amdhsa_ieee_mode 1
		.amdhsa_fp16_overflow 0
		.amdhsa_workgroup_processor_mode 1
		.amdhsa_memory_ordered 1
		.amdhsa_forward_progress 1
		.amdhsa_shared_vgpr_count 0
		.amdhsa_exception_fp_ieee_invalid_op 0
		.amdhsa_exception_fp_denorm_src 0
		.amdhsa_exception_fp_ieee_div_zero 0
		.amdhsa_exception_fp_ieee_overflow 0
		.amdhsa_exception_fp_ieee_underflow 0
		.amdhsa_exception_fp_ieee_inexact 0
		.amdhsa_exception_int_div_zero 0
	.end_amdhsa_kernel
	.section	.text._ZN7rocprim17ROCPRIM_400000_NS6detail17trampoline_kernelINS0_14default_configENS1_25transform_config_selectorImLb0EEEZNS1_14transform_implILb0ES3_S5_NS0_17constant_iteratorImlEEPmNS0_8identityImEEEE10hipError_tT2_T3_mT4_P12ihipStream_tbEUlT_E_NS1_11comp_targetILNS1_3genE9ELNS1_11target_archE1100ELNS1_3gpuE3ELNS1_3repE0EEENS1_30default_config_static_selectorELNS0_4arch9wavefront6targetE0EEEvT1_,"axG",@progbits,_ZN7rocprim17ROCPRIM_400000_NS6detail17trampoline_kernelINS0_14default_configENS1_25transform_config_selectorImLb0EEEZNS1_14transform_implILb0ES3_S5_NS0_17constant_iteratorImlEEPmNS0_8identityImEEEE10hipError_tT2_T3_mT4_P12ihipStream_tbEUlT_E_NS1_11comp_targetILNS1_3genE9ELNS1_11target_archE1100ELNS1_3gpuE3ELNS1_3repE0EEENS1_30default_config_static_selectorELNS0_4arch9wavefront6targetE0EEEvT1_,comdat
.Lfunc_end63:
	.size	_ZN7rocprim17ROCPRIM_400000_NS6detail17trampoline_kernelINS0_14default_configENS1_25transform_config_selectorImLb0EEEZNS1_14transform_implILb0ES3_S5_NS0_17constant_iteratorImlEEPmNS0_8identityImEEEE10hipError_tT2_T3_mT4_P12ihipStream_tbEUlT_E_NS1_11comp_targetILNS1_3genE9ELNS1_11target_archE1100ELNS1_3gpuE3ELNS1_3repE0EEENS1_30default_config_static_selectorELNS0_4arch9wavefront6targetE0EEEvT1_, .Lfunc_end63-_ZN7rocprim17ROCPRIM_400000_NS6detail17trampoline_kernelINS0_14default_configENS1_25transform_config_selectorImLb0EEEZNS1_14transform_implILb0ES3_S5_NS0_17constant_iteratorImlEEPmNS0_8identityImEEEE10hipError_tT2_T3_mT4_P12ihipStream_tbEUlT_E_NS1_11comp_targetILNS1_3genE9ELNS1_11target_archE1100ELNS1_3gpuE3ELNS1_3repE0EEENS1_30default_config_static_selectorELNS0_4arch9wavefront6targetE0EEEvT1_
                                        ; -- End function
	.set _ZN7rocprim17ROCPRIM_400000_NS6detail17trampoline_kernelINS0_14default_configENS1_25transform_config_selectorImLb0EEEZNS1_14transform_implILb0ES3_S5_NS0_17constant_iteratorImlEEPmNS0_8identityImEEEE10hipError_tT2_T3_mT4_P12ihipStream_tbEUlT_E_NS1_11comp_targetILNS1_3genE9ELNS1_11target_archE1100ELNS1_3gpuE3ELNS1_3repE0EEENS1_30default_config_static_selectorELNS0_4arch9wavefront6targetE0EEEvT1_.num_vgpr, 0
	.set _ZN7rocprim17ROCPRIM_400000_NS6detail17trampoline_kernelINS0_14default_configENS1_25transform_config_selectorImLb0EEEZNS1_14transform_implILb0ES3_S5_NS0_17constant_iteratorImlEEPmNS0_8identityImEEEE10hipError_tT2_T3_mT4_P12ihipStream_tbEUlT_E_NS1_11comp_targetILNS1_3genE9ELNS1_11target_archE1100ELNS1_3gpuE3ELNS1_3repE0EEENS1_30default_config_static_selectorELNS0_4arch9wavefront6targetE0EEEvT1_.num_agpr, 0
	.set _ZN7rocprim17ROCPRIM_400000_NS6detail17trampoline_kernelINS0_14default_configENS1_25transform_config_selectorImLb0EEEZNS1_14transform_implILb0ES3_S5_NS0_17constant_iteratorImlEEPmNS0_8identityImEEEE10hipError_tT2_T3_mT4_P12ihipStream_tbEUlT_E_NS1_11comp_targetILNS1_3genE9ELNS1_11target_archE1100ELNS1_3gpuE3ELNS1_3repE0EEENS1_30default_config_static_selectorELNS0_4arch9wavefront6targetE0EEEvT1_.numbered_sgpr, 0
	.set _ZN7rocprim17ROCPRIM_400000_NS6detail17trampoline_kernelINS0_14default_configENS1_25transform_config_selectorImLb0EEEZNS1_14transform_implILb0ES3_S5_NS0_17constant_iteratorImlEEPmNS0_8identityImEEEE10hipError_tT2_T3_mT4_P12ihipStream_tbEUlT_E_NS1_11comp_targetILNS1_3genE9ELNS1_11target_archE1100ELNS1_3gpuE3ELNS1_3repE0EEENS1_30default_config_static_selectorELNS0_4arch9wavefront6targetE0EEEvT1_.num_named_barrier, 0
	.set _ZN7rocprim17ROCPRIM_400000_NS6detail17trampoline_kernelINS0_14default_configENS1_25transform_config_selectorImLb0EEEZNS1_14transform_implILb0ES3_S5_NS0_17constant_iteratorImlEEPmNS0_8identityImEEEE10hipError_tT2_T3_mT4_P12ihipStream_tbEUlT_E_NS1_11comp_targetILNS1_3genE9ELNS1_11target_archE1100ELNS1_3gpuE3ELNS1_3repE0EEENS1_30default_config_static_selectorELNS0_4arch9wavefront6targetE0EEEvT1_.private_seg_size, 0
	.set _ZN7rocprim17ROCPRIM_400000_NS6detail17trampoline_kernelINS0_14default_configENS1_25transform_config_selectorImLb0EEEZNS1_14transform_implILb0ES3_S5_NS0_17constant_iteratorImlEEPmNS0_8identityImEEEE10hipError_tT2_T3_mT4_P12ihipStream_tbEUlT_E_NS1_11comp_targetILNS1_3genE9ELNS1_11target_archE1100ELNS1_3gpuE3ELNS1_3repE0EEENS1_30default_config_static_selectorELNS0_4arch9wavefront6targetE0EEEvT1_.uses_vcc, 0
	.set _ZN7rocprim17ROCPRIM_400000_NS6detail17trampoline_kernelINS0_14default_configENS1_25transform_config_selectorImLb0EEEZNS1_14transform_implILb0ES3_S5_NS0_17constant_iteratorImlEEPmNS0_8identityImEEEE10hipError_tT2_T3_mT4_P12ihipStream_tbEUlT_E_NS1_11comp_targetILNS1_3genE9ELNS1_11target_archE1100ELNS1_3gpuE3ELNS1_3repE0EEENS1_30default_config_static_selectorELNS0_4arch9wavefront6targetE0EEEvT1_.uses_flat_scratch, 0
	.set _ZN7rocprim17ROCPRIM_400000_NS6detail17trampoline_kernelINS0_14default_configENS1_25transform_config_selectorImLb0EEEZNS1_14transform_implILb0ES3_S5_NS0_17constant_iteratorImlEEPmNS0_8identityImEEEE10hipError_tT2_T3_mT4_P12ihipStream_tbEUlT_E_NS1_11comp_targetILNS1_3genE9ELNS1_11target_archE1100ELNS1_3gpuE3ELNS1_3repE0EEENS1_30default_config_static_selectorELNS0_4arch9wavefront6targetE0EEEvT1_.has_dyn_sized_stack, 0
	.set _ZN7rocprim17ROCPRIM_400000_NS6detail17trampoline_kernelINS0_14default_configENS1_25transform_config_selectorImLb0EEEZNS1_14transform_implILb0ES3_S5_NS0_17constant_iteratorImlEEPmNS0_8identityImEEEE10hipError_tT2_T3_mT4_P12ihipStream_tbEUlT_E_NS1_11comp_targetILNS1_3genE9ELNS1_11target_archE1100ELNS1_3gpuE3ELNS1_3repE0EEENS1_30default_config_static_selectorELNS0_4arch9wavefront6targetE0EEEvT1_.has_recursion, 0
	.set _ZN7rocprim17ROCPRIM_400000_NS6detail17trampoline_kernelINS0_14default_configENS1_25transform_config_selectorImLb0EEEZNS1_14transform_implILb0ES3_S5_NS0_17constant_iteratorImlEEPmNS0_8identityImEEEE10hipError_tT2_T3_mT4_P12ihipStream_tbEUlT_E_NS1_11comp_targetILNS1_3genE9ELNS1_11target_archE1100ELNS1_3gpuE3ELNS1_3repE0EEENS1_30default_config_static_selectorELNS0_4arch9wavefront6targetE0EEEvT1_.has_indirect_call, 0
	.section	.AMDGPU.csdata,"",@progbits
; Kernel info:
; codeLenInByte = 0
; TotalNumSgprs: 0
; NumVgprs: 0
; ScratchSize: 0
; MemoryBound: 0
; FloatMode: 240
; IeeeMode: 1
; LDSByteSize: 0 bytes/workgroup (compile time only)
; SGPRBlocks: 0
; VGPRBlocks: 0
; NumSGPRsForWavesPerEU: 1
; NumVGPRsForWavesPerEU: 1
; Occupancy: 16
; WaveLimiterHint : 0
; COMPUTE_PGM_RSRC2:SCRATCH_EN: 0
; COMPUTE_PGM_RSRC2:USER_SGPR: 6
; COMPUTE_PGM_RSRC2:TRAP_HANDLER: 0
; COMPUTE_PGM_RSRC2:TGID_X_EN: 1
; COMPUTE_PGM_RSRC2:TGID_Y_EN: 0
; COMPUTE_PGM_RSRC2:TGID_Z_EN: 0
; COMPUTE_PGM_RSRC2:TIDIG_COMP_CNT: 0
	.section	.text._ZN7rocprim17ROCPRIM_400000_NS6detail17trampoline_kernelINS0_14default_configENS1_25transform_config_selectorImLb0EEEZNS1_14transform_implILb0ES3_S5_NS0_17constant_iteratorImlEEPmNS0_8identityImEEEE10hipError_tT2_T3_mT4_P12ihipStream_tbEUlT_E_NS1_11comp_targetILNS1_3genE8ELNS1_11target_archE1030ELNS1_3gpuE2ELNS1_3repE0EEENS1_30default_config_static_selectorELNS0_4arch9wavefront6targetE0EEEvT1_,"axG",@progbits,_ZN7rocprim17ROCPRIM_400000_NS6detail17trampoline_kernelINS0_14default_configENS1_25transform_config_selectorImLb0EEEZNS1_14transform_implILb0ES3_S5_NS0_17constant_iteratorImlEEPmNS0_8identityImEEEE10hipError_tT2_T3_mT4_P12ihipStream_tbEUlT_E_NS1_11comp_targetILNS1_3genE8ELNS1_11target_archE1030ELNS1_3gpuE2ELNS1_3repE0EEENS1_30default_config_static_selectorELNS0_4arch9wavefront6targetE0EEEvT1_,comdat
	.protected	_ZN7rocprim17ROCPRIM_400000_NS6detail17trampoline_kernelINS0_14default_configENS1_25transform_config_selectorImLb0EEEZNS1_14transform_implILb0ES3_S5_NS0_17constant_iteratorImlEEPmNS0_8identityImEEEE10hipError_tT2_T3_mT4_P12ihipStream_tbEUlT_E_NS1_11comp_targetILNS1_3genE8ELNS1_11target_archE1030ELNS1_3gpuE2ELNS1_3repE0EEENS1_30default_config_static_selectorELNS0_4arch9wavefront6targetE0EEEvT1_ ; -- Begin function _ZN7rocprim17ROCPRIM_400000_NS6detail17trampoline_kernelINS0_14default_configENS1_25transform_config_selectorImLb0EEEZNS1_14transform_implILb0ES3_S5_NS0_17constant_iteratorImlEEPmNS0_8identityImEEEE10hipError_tT2_T3_mT4_P12ihipStream_tbEUlT_E_NS1_11comp_targetILNS1_3genE8ELNS1_11target_archE1030ELNS1_3gpuE2ELNS1_3repE0EEENS1_30default_config_static_selectorELNS0_4arch9wavefront6targetE0EEEvT1_
	.globl	_ZN7rocprim17ROCPRIM_400000_NS6detail17trampoline_kernelINS0_14default_configENS1_25transform_config_selectorImLb0EEEZNS1_14transform_implILb0ES3_S5_NS0_17constant_iteratorImlEEPmNS0_8identityImEEEE10hipError_tT2_T3_mT4_P12ihipStream_tbEUlT_E_NS1_11comp_targetILNS1_3genE8ELNS1_11target_archE1030ELNS1_3gpuE2ELNS1_3repE0EEENS1_30default_config_static_selectorELNS0_4arch9wavefront6targetE0EEEvT1_
	.p2align	8
	.type	_ZN7rocprim17ROCPRIM_400000_NS6detail17trampoline_kernelINS0_14default_configENS1_25transform_config_selectorImLb0EEEZNS1_14transform_implILb0ES3_S5_NS0_17constant_iteratorImlEEPmNS0_8identityImEEEE10hipError_tT2_T3_mT4_P12ihipStream_tbEUlT_E_NS1_11comp_targetILNS1_3genE8ELNS1_11target_archE1030ELNS1_3gpuE2ELNS1_3repE0EEENS1_30default_config_static_selectorELNS0_4arch9wavefront6targetE0EEEvT1_,@function
_ZN7rocprim17ROCPRIM_400000_NS6detail17trampoline_kernelINS0_14default_configENS1_25transform_config_selectorImLb0EEEZNS1_14transform_implILb0ES3_S5_NS0_17constant_iteratorImlEEPmNS0_8identityImEEEE10hipError_tT2_T3_mT4_P12ihipStream_tbEUlT_E_NS1_11comp_targetILNS1_3genE8ELNS1_11target_archE1030ELNS1_3gpuE2ELNS1_3repE0EEENS1_30default_config_static_selectorELNS0_4arch9wavefront6targetE0EEEvT1_: ; @_ZN7rocprim17ROCPRIM_400000_NS6detail17trampoline_kernelINS0_14default_configENS1_25transform_config_selectorImLb0EEEZNS1_14transform_implILb0ES3_S5_NS0_17constant_iteratorImlEEPmNS0_8identityImEEEE10hipError_tT2_T3_mT4_P12ihipStream_tbEUlT_E_NS1_11comp_targetILNS1_3genE8ELNS1_11target_archE1030ELNS1_3gpuE2ELNS1_3repE0EEENS1_30default_config_static_selectorELNS0_4arch9wavefront6targetE0EEEvT1_
; %bb.0:
	s_clause 0x3
	s_load_dwordx2 s[2:3], s[4:5], 0x10
	s_load_dwordx2 s[8:9], s[4:5], 0x20
	s_load_dword s12, s[4:5], 0x30
	s_load_dwordx2 s[0:1], s[4:5], 0x0
	v_lshlrev_b32_e32 v3, 3, v0
                                        ; implicit-def: $vgpr1_vgpr2
	s_waitcnt lgkmcnt(0)
	s_lshl_b64 s[10:11], s[2:3], 3
	s_mov_b32 s3, 0
	s_add_u32 s8, s8, s10
	s_addc_u32 s7, s9, s11
	s_add_i32 s12, s12, -1
	s_lshl_b32 s2, s6, 10
	s_mov_b32 s9, -1
	s_cmp_eq_u32 s6, s12
	s_mov_b32 s6, s3
	s_cbranch_scc0 .LBB64_4
; %bb.1:
	s_andn2_b32 vcc_lo, exec_lo, s9
	s_cbranch_vccz .LBB64_5
.LBB64_2:
	s_and_saveexec_b32 s2, s6
	s_cbranch_execnz .LBB64_8
.LBB64_3:
	s_endpgm
.LBB64_4:
	s_lshl_b64 s[10:11], s[2:3], 3
	v_mov_b32_e32 v5, s1
	s_add_u32 s10, s8, s10
	s_addc_u32 s11, s7, s11
	v_add_co_u32 v1, s6, s10, v3
	v_mov_b32_e32 v4, s0
	v_add_co_ci_u32_e64 v2, null, s11, 0, s6
	s_mov_b32 s6, -1
	global_store_dwordx2 v3, v[4:5], s[10:11]
	s_cbranch_execnz .LBB64_2
.LBB64_5:
	s_load_dword s6, s[4:5], 0x18
	s_lshl_b64 s[4:5], s[2:3], 3
	s_waitcnt lgkmcnt(0)
	s_sub_i32 s2, s6, s2
	s_add_u32 s3, s8, s4
	s_addc_u32 s4, s7, s5
	v_add_co_u32 v1, s3, s3, v3
	v_add_co_ci_u32_e64 v2, null, s4, 0, s3
	s_mov_b32 s3, exec_lo
	v_cmpx_gt_u32_e64 s2, v0
	s_cbranch_execz .LBB64_7
; %bb.6:
	v_mov_b32_e32 v4, s1
	v_mov_b32_e32 v3, s0
	global_store_dwordx2 v[1:2], v[3:4], off
.LBB64_7:
	s_or_b32 exec_lo, exec_lo, s3
	v_or_b32_e32 v0, 0x200, v0
	v_cmp_gt_u32_e64 s6, s2, v0
	s_and_saveexec_b32 s2, s6
	s_cbranch_execz .LBB64_3
.LBB64_8:
	v_add_co_u32 v0, vcc_lo, 0x1000, v1
	v_add_co_ci_u32_e64 v1, null, 0, v2, vcc_lo
	v_mov_b32_e32 v3, s1
	v_mov_b32_e32 v2, s0
	global_store_dwordx2 v[0:1], v[2:3], off
	s_endpgm
	.section	.rodata,"a",@progbits
	.p2align	6, 0x0
	.amdhsa_kernel _ZN7rocprim17ROCPRIM_400000_NS6detail17trampoline_kernelINS0_14default_configENS1_25transform_config_selectorImLb0EEEZNS1_14transform_implILb0ES3_S5_NS0_17constant_iteratorImlEEPmNS0_8identityImEEEE10hipError_tT2_T3_mT4_P12ihipStream_tbEUlT_E_NS1_11comp_targetILNS1_3genE8ELNS1_11target_archE1030ELNS1_3gpuE2ELNS1_3repE0EEENS1_30default_config_static_selectorELNS0_4arch9wavefront6targetE0EEEvT1_
		.amdhsa_group_segment_fixed_size 0
		.amdhsa_private_segment_fixed_size 0
		.amdhsa_kernarg_size 304
		.amdhsa_user_sgpr_count 6
		.amdhsa_user_sgpr_private_segment_buffer 1
		.amdhsa_user_sgpr_dispatch_ptr 0
		.amdhsa_user_sgpr_queue_ptr 0
		.amdhsa_user_sgpr_kernarg_segment_ptr 1
		.amdhsa_user_sgpr_dispatch_id 0
		.amdhsa_user_sgpr_flat_scratch_init 0
		.amdhsa_user_sgpr_private_segment_size 0
		.amdhsa_wavefront_size32 1
		.amdhsa_uses_dynamic_stack 0
		.amdhsa_system_sgpr_private_segment_wavefront_offset 0
		.amdhsa_system_sgpr_workgroup_id_x 1
		.amdhsa_system_sgpr_workgroup_id_y 0
		.amdhsa_system_sgpr_workgroup_id_z 0
		.amdhsa_system_sgpr_workgroup_info 0
		.amdhsa_system_vgpr_workitem_id 0
		.amdhsa_next_free_vgpr 6
		.amdhsa_next_free_sgpr 13
		.amdhsa_reserve_vcc 1
		.amdhsa_reserve_flat_scratch 0
		.amdhsa_float_round_mode_32 0
		.amdhsa_float_round_mode_16_64 0
		.amdhsa_float_denorm_mode_32 3
		.amdhsa_float_denorm_mode_16_64 3
		.amdhsa_dx10_clamp 1
		.amdhsa_ieee_mode 1
		.amdhsa_fp16_overflow 0
		.amdhsa_workgroup_processor_mode 1
		.amdhsa_memory_ordered 1
		.amdhsa_forward_progress 1
		.amdhsa_shared_vgpr_count 0
		.amdhsa_exception_fp_ieee_invalid_op 0
		.amdhsa_exception_fp_denorm_src 0
		.amdhsa_exception_fp_ieee_div_zero 0
		.amdhsa_exception_fp_ieee_overflow 0
		.amdhsa_exception_fp_ieee_underflow 0
		.amdhsa_exception_fp_ieee_inexact 0
		.amdhsa_exception_int_div_zero 0
	.end_amdhsa_kernel
	.section	.text._ZN7rocprim17ROCPRIM_400000_NS6detail17trampoline_kernelINS0_14default_configENS1_25transform_config_selectorImLb0EEEZNS1_14transform_implILb0ES3_S5_NS0_17constant_iteratorImlEEPmNS0_8identityImEEEE10hipError_tT2_T3_mT4_P12ihipStream_tbEUlT_E_NS1_11comp_targetILNS1_3genE8ELNS1_11target_archE1030ELNS1_3gpuE2ELNS1_3repE0EEENS1_30default_config_static_selectorELNS0_4arch9wavefront6targetE0EEEvT1_,"axG",@progbits,_ZN7rocprim17ROCPRIM_400000_NS6detail17trampoline_kernelINS0_14default_configENS1_25transform_config_selectorImLb0EEEZNS1_14transform_implILb0ES3_S5_NS0_17constant_iteratorImlEEPmNS0_8identityImEEEE10hipError_tT2_T3_mT4_P12ihipStream_tbEUlT_E_NS1_11comp_targetILNS1_3genE8ELNS1_11target_archE1030ELNS1_3gpuE2ELNS1_3repE0EEENS1_30default_config_static_selectorELNS0_4arch9wavefront6targetE0EEEvT1_,comdat
.Lfunc_end64:
	.size	_ZN7rocprim17ROCPRIM_400000_NS6detail17trampoline_kernelINS0_14default_configENS1_25transform_config_selectorImLb0EEEZNS1_14transform_implILb0ES3_S5_NS0_17constant_iteratorImlEEPmNS0_8identityImEEEE10hipError_tT2_T3_mT4_P12ihipStream_tbEUlT_E_NS1_11comp_targetILNS1_3genE8ELNS1_11target_archE1030ELNS1_3gpuE2ELNS1_3repE0EEENS1_30default_config_static_selectorELNS0_4arch9wavefront6targetE0EEEvT1_, .Lfunc_end64-_ZN7rocprim17ROCPRIM_400000_NS6detail17trampoline_kernelINS0_14default_configENS1_25transform_config_selectorImLb0EEEZNS1_14transform_implILb0ES3_S5_NS0_17constant_iteratorImlEEPmNS0_8identityImEEEE10hipError_tT2_T3_mT4_P12ihipStream_tbEUlT_E_NS1_11comp_targetILNS1_3genE8ELNS1_11target_archE1030ELNS1_3gpuE2ELNS1_3repE0EEENS1_30default_config_static_selectorELNS0_4arch9wavefront6targetE0EEEvT1_
                                        ; -- End function
	.set _ZN7rocprim17ROCPRIM_400000_NS6detail17trampoline_kernelINS0_14default_configENS1_25transform_config_selectorImLb0EEEZNS1_14transform_implILb0ES3_S5_NS0_17constant_iteratorImlEEPmNS0_8identityImEEEE10hipError_tT2_T3_mT4_P12ihipStream_tbEUlT_E_NS1_11comp_targetILNS1_3genE8ELNS1_11target_archE1030ELNS1_3gpuE2ELNS1_3repE0EEENS1_30default_config_static_selectorELNS0_4arch9wavefront6targetE0EEEvT1_.num_vgpr, 6
	.set _ZN7rocprim17ROCPRIM_400000_NS6detail17trampoline_kernelINS0_14default_configENS1_25transform_config_selectorImLb0EEEZNS1_14transform_implILb0ES3_S5_NS0_17constant_iteratorImlEEPmNS0_8identityImEEEE10hipError_tT2_T3_mT4_P12ihipStream_tbEUlT_E_NS1_11comp_targetILNS1_3genE8ELNS1_11target_archE1030ELNS1_3gpuE2ELNS1_3repE0EEENS1_30default_config_static_selectorELNS0_4arch9wavefront6targetE0EEEvT1_.num_agpr, 0
	.set _ZN7rocprim17ROCPRIM_400000_NS6detail17trampoline_kernelINS0_14default_configENS1_25transform_config_selectorImLb0EEEZNS1_14transform_implILb0ES3_S5_NS0_17constant_iteratorImlEEPmNS0_8identityImEEEE10hipError_tT2_T3_mT4_P12ihipStream_tbEUlT_E_NS1_11comp_targetILNS1_3genE8ELNS1_11target_archE1030ELNS1_3gpuE2ELNS1_3repE0EEENS1_30default_config_static_selectorELNS0_4arch9wavefront6targetE0EEEvT1_.numbered_sgpr, 13
	.set _ZN7rocprim17ROCPRIM_400000_NS6detail17trampoline_kernelINS0_14default_configENS1_25transform_config_selectorImLb0EEEZNS1_14transform_implILb0ES3_S5_NS0_17constant_iteratorImlEEPmNS0_8identityImEEEE10hipError_tT2_T3_mT4_P12ihipStream_tbEUlT_E_NS1_11comp_targetILNS1_3genE8ELNS1_11target_archE1030ELNS1_3gpuE2ELNS1_3repE0EEENS1_30default_config_static_selectorELNS0_4arch9wavefront6targetE0EEEvT1_.num_named_barrier, 0
	.set _ZN7rocprim17ROCPRIM_400000_NS6detail17trampoline_kernelINS0_14default_configENS1_25transform_config_selectorImLb0EEEZNS1_14transform_implILb0ES3_S5_NS0_17constant_iteratorImlEEPmNS0_8identityImEEEE10hipError_tT2_T3_mT4_P12ihipStream_tbEUlT_E_NS1_11comp_targetILNS1_3genE8ELNS1_11target_archE1030ELNS1_3gpuE2ELNS1_3repE0EEENS1_30default_config_static_selectorELNS0_4arch9wavefront6targetE0EEEvT1_.private_seg_size, 0
	.set _ZN7rocprim17ROCPRIM_400000_NS6detail17trampoline_kernelINS0_14default_configENS1_25transform_config_selectorImLb0EEEZNS1_14transform_implILb0ES3_S5_NS0_17constant_iteratorImlEEPmNS0_8identityImEEEE10hipError_tT2_T3_mT4_P12ihipStream_tbEUlT_E_NS1_11comp_targetILNS1_3genE8ELNS1_11target_archE1030ELNS1_3gpuE2ELNS1_3repE0EEENS1_30default_config_static_selectorELNS0_4arch9wavefront6targetE0EEEvT1_.uses_vcc, 1
	.set _ZN7rocprim17ROCPRIM_400000_NS6detail17trampoline_kernelINS0_14default_configENS1_25transform_config_selectorImLb0EEEZNS1_14transform_implILb0ES3_S5_NS0_17constant_iteratorImlEEPmNS0_8identityImEEEE10hipError_tT2_T3_mT4_P12ihipStream_tbEUlT_E_NS1_11comp_targetILNS1_3genE8ELNS1_11target_archE1030ELNS1_3gpuE2ELNS1_3repE0EEENS1_30default_config_static_selectorELNS0_4arch9wavefront6targetE0EEEvT1_.uses_flat_scratch, 0
	.set _ZN7rocprim17ROCPRIM_400000_NS6detail17trampoline_kernelINS0_14default_configENS1_25transform_config_selectorImLb0EEEZNS1_14transform_implILb0ES3_S5_NS0_17constant_iteratorImlEEPmNS0_8identityImEEEE10hipError_tT2_T3_mT4_P12ihipStream_tbEUlT_E_NS1_11comp_targetILNS1_3genE8ELNS1_11target_archE1030ELNS1_3gpuE2ELNS1_3repE0EEENS1_30default_config_static_selectorELNS0_4arch9wavefront6targetE0EEEvT1_.has_dyn_sized_stack, 0
	.set _ZN7rocprim17ROCPRIM_400000_NS6detail17trampoline_kernelINS0_14default_configENS1_25transform_config_selectorImLb0EEEZNS1_14transform_implILb0ES3_S5_NS0_17constant_iteratorImlEEPmNS0_8identityImEEEE10hipError_tT2_T3_mT4_P12ihipStream_tbEUlT_E_NS1_11comp_targetILNS1_3genE8ELNS1_11target_archE1030ELNS1_3gpuE2ELNS1_3repE0EEENS1_30default_config_static_selectorELNS0_4arch9wavefront6targetE0EEEvT1_.has_recursion, 0
	.set _ZN7rocprim17ROCPRIM_400000_NS6detail17trampoline_kernelINS0_14default_configENS1_25transform_config_selectorImLb0EEEZNS1_14transform_implILb0ES3_S5_NS0_17constant_iteratorImlEEPmNS0_8identityImEEEE10hipError_tT2_T3_mT4_P12ihipStream_tbEUlT_E_NS1_11comp_targetILNS1_3genE8ELNS1_11target_archE1030ELNS1_3gpuE2ELNS1_3repE0EEENS1_30default_config_static_selectorELNS0_4arch9wavefront6targetE0EEEvT1_.has_indirect_call, 0
	.section	.AMDGPU.csdata,"",@progbits
; Kernel info:
; codeLenInByte = 300
; TotalNumSgprs: 15
; NumVgprs: 6
; ScratchSize: 0
; MemoryBound: 0
; FloatMode: 240
; IeeeMode: 1
; LDSByteSize: 0 bytes/workgroup (compile time only)
; SGPRBlocks: 0
; VGPRBlocks: 0
; NumSGPRsForWavesPerEU: 15
; NumVGPRsForWavesPerEU: 6
; Occupancy: 16
; WaveLimiterHint : 0
; COMPUTE_PGM_RSRC2:SCRATCH_EN: 0
; COMPUTE_PGM_RSRC2:USER_SGPR: 6
; COMPUTE_PGM_RSRC2:TRAP_HANDLER: 0
; COMPUTE_PGM_RSRC2:TGID_X_EN: 1
; COMPUTE_PGM_RSRC2:TGID_Y_EN: 0
; COMPUTE_PGM_RSRC2:TGID_Z_EN: 0
; COMPUTE_PGM_RSRC2:TIDIG_COMP_CNT: 0
	.section	.text._ZN7rocprim17ROCPRIM_400000_NS6detail25reduce_by_key_init_kernelINS1_19lookback_scan_stateINS0_5tupleIJjfEEELb0ELb1EEEfNS1_16block_id_wrapperIjLb0EEEEEvT_jbjPmPT0_T1_,"axG",@progbits,_ZN7rocprim17ROCPRIM_400000_NS6detail25reduce_by_key_init_kernelINS1_19lookback_scan_stateINS0_5tupleIJjfEEELb0ELb1EEEfNS1_16block_id_wrapperIjLb0EEEEEvT_jbjPmPT0_T1_,comdat
	.protected	_ZN7rocprim17ROCPRIM_400000_NS6detail25reduce_by_key_init_kernelINS1_19lookback_scan_stateINS0_5tupleIJjfEEELb0ELb1EEEfNS1_16block_id_wrapperIjLb0EEEEEvT_jbjPmPT0_T1_ ; -- Begin function _ZN7rocprim17ROCPRIM_400000_NS6detail25reduce_by_key_init_kernelINS1_19lookback_scan_stateINS0_5tupleIJjfEEELb0ELb1EEEfNS1_16block_id_wrapperIjLb0EEEEEvT_jbjPmPT0_T1_
	.globl	_ZN7rocprim17ROCPRIM_400000_NS6detail25reduce_by_key_init_kernelINS1_19lookback_scan_stateINS0_5tupleIJjfEEELb0ELb1EEEfNS1_16block_id_wrapperIjLb0EEEEEvT_jbjPmPT0_T1_
	.p2align	8
	.type	_ZN7rocprim17ROCPRIM_400000_NS6detail25reduce_by_key_init_kernelINS1_19lookback_scan_stateINS0_5tupleIJjfEEELb0ELb1EEEfNS1_16block_id_wrapperIjLb0EEEEEvT_jbjPmPT0_T1_,@function
_ZN7rocprim17ROCPRIM_400000_NS6detail25reduce_by_key_init_kernelINS1_19lookback_scan_stateINS0_5tupleIJjfEEELb0ELb1EEEfNS1_16block_id_wrapperIjLb0EEEEEvT_jbjPmPT0_T1_: ; @_ZN7rocprim17ROCPRIM_400000_NS6detail25reduce_by_key_init_kernelINS1_19lookback_scan_stateINS0_5tupleIJjfEEELb0ELb1EEEfNS1_16block_id_wrapperIjLb0EEEEEvT_jbjPmPT0_T1_
; %bb.0:
	s_clause 0x2
	s_load_dword s2, s[4:5], 0x3c
	s_load_dwordx8 s[8:15], s[4:5], 0x8
	s_load_dwordx2 s[0:1], s[4:5], 0x0
	s_waitcnt lgkmcnt(0)
	s_and_b32 s2, s2, 0xffff
	v_mad_u64_u32 v[0:1], null, s6, s2, v[0:1]
	s_and_b32 s2, s9, 1
	s_cmp_eq_u32 s2, 0
	s_mov_b32 s2, -1
	s_cbranch_scc1 .LBB65_7
; %bb.1:
	s_andn2_b32 vcc_lo, exec_lo, s2
	s_cbranch_vccz .LBB65_14
.LBB65_2:
	s_mov_b32 s2, exec_lo
	v_cmpx_gt_u32_e64 s8, v0
	s_cbranch_execz .LBB65_4
.LBB65_3:
	v_add_nc_u32_e32 v1, 32, v0
	v_mov_b32_e32 v2, 0
	v_lshlrev_b64 v[4:5], 4, v[1:2]
	v_mov_b32_e32 v1, v2
	v_mov_b32_e32 v3, v2
	v_add_co_u32 v6, vcc_lo, s0, v4
	v_add_co_ci_u32_e64 v7, null, s1, v5, vcc_lo
	v_mov_b32_e32 v4, v2
	global_store_dwordx4 v[6:7], v[1:4], off
.LBB65_4:
	s_or_b32 exec_lo, exec_lo, s2
	s_mov_b32 s2, exec_lo
	v_cmpx_gt_u32_e32 32, v0
	s_cbranch_execz .LBB65_6
; %bb.5:
	v_mov_b32_e32 v1, 0
	v_mov_b32_e32 v2, 0xff
	v_lshlrev_b64 v[3:4], 4, v[0:1]
	v_mov_b32_e32 v0, v1
	v_add_co_u32 v5, vcc_lo, s0, v3
	v_add_co_ci_u32_e64 v6, null, s1, v4, vcc_lo
	v_mov_b32_e32 v3, v1
	global_store_dwordx4 v[5:6], v[0:3], off
.LBB65_6:
	s_endpgm
.LBB65_7:
	s_cmp_lt_u32 s10, s8
	s_mov_b32 s6, exec_lo
	s_cselect_b32 s2, s10, 0
	v_cmpx_eq_u32_e64 s2, v0
	s_cbranch_execz .LBB65_13
; %bb.8:
	s_add_i32 s2, s10, 32
	s_mov_b32 s3, 0
	v_mov_b32_e32 v10, 0
	s_lshl_b64 s[4:5], s[2:3], 4
	s_mov_b32 s2, exec_lo
	s_add_u32 s4, s0, s4
	s_addc_u32 s5, s1, s5
	v_mov_b32_e32 v1, s4
	v_mov_b32_e32 v2, s5
	;;#ASMSTART
	global_load_dwordx4 v[1:4], v[1:2] off glc dlc	
s_waitcnt vmcnt(0)
	;;#ASMEND
	v_and_b32_e32 v9, 0xff, v3
	v_lshrrev_b64 v[7:8], 8, v[1:2]
	v_lshrrev_b64 v[5:6], 16, v[1:2]
	;; [unrolled: 1-line block ×3, first 2 shown]
	v_cmpx_eq_u64_e32 0, v[9:10]
	s_cbranch_execz .LBB65_12
; %bb.9:
	v_mov_b32_e32 v6, s5
	v_mov_b32_e32 v5, s4
.LBB65_10:                              ; =>This Inner Loop Header: Depth=1
	;;#ASMSTART
	global_load_dwordx4 v[1:4], v[5:6] off glc dlc	
s_waitcnt vmcnt(0)
	;;#ASMEND
	v_and_b32_e32 v9, 0xff, v3
	v_cmp_ne_u64_e32 vcc_lo, 0, v[9:10]
	s_or_b32 s3, vcc_lo, s3
	s_andn2_b32 exec_lo, exec_lo, s3
	s_cbranch_execnz .LBB65_10
; %bb.11:
	s_or_b32 exec_lo, exec_lo, s3
	v_lshrrev_b64 v[3:4], 24, v[1:2]
	v_lshrrev_b64 v[5:6], 16, v[1:2]
	;; [unrolled: 1-line block ×3, first 2 shown]
.LBB65_12:
	s_or_b32 exec_lo, exec_lo, s2
	v_mov_b32_e32 v6, 0
	v_lshlrev_b32_e32 v4, 8, v7
	v_lshlrev_b32_e32 v5, 16, v5
	v_lshlrev_b32_e32 v3, 24, v3
	global_load_dwordx2 v[8:9], v6, s[12:13]
	v_perm_b32 v1, v4, v1, 0xc0c0500
	v_and_or_b32 v1, 0xff0000, v5, v1
	s_waitcnt vmcnt(0)
	v_add_co_u32 v1, vcc_lo, v1, v8
	v_add_co_ci_u32_e64 v4, null, 0, v9, vcc_lo
	v_add_co_u32 v3, vcc_lo, v1, v3
	v_add_co_ci_u32_e64 v4, null, 0, v4, vcc_lo
	global_store_dwordx2 v6, v[3:4], s[12:13]
	global_store_dword v6, v2, s[14:15]
.LBB65_13:
	s_or_b32 exec_lo, exec_lo, s6
	s_cbranch_execnz .LBB65_2
.LBB65_14:
	v_cmp_eq_u32_e32 vcc_lo, 0, v0
	s_cmp_lg_u64 s[12:13], 0
	s_cselect_b32 s2, -1, 0
	s_and_b32 s3, s2, vcc_lo
	s_and_saveexec_b32 s2, s3
	s_cbranch_execz .LBB65_16
; %bb.15:
	v_mov_b32_e32 v1, 0
	v_mov_b32_e32 v2, v1
	global_store_dwordx2 v1, v[1:2], s[12:13]
.LBB65_16:
	s_or_b32 exec_lo, exec_lo, s2
	s_mov_b32 s2, exec_lo
	v_cmpx_gt_u32_e64 s8, v0
	s_cbranch_execnz .LBB65_3
	s_branch .LBB65_4
	.section	.rodata,"a",@progbits
	.p2align	6, 0x0
	.amdhsa_kernel _ZN7rocprim17ROCPRIM_400000_NS6detail25reduce_by_key_init_kernelINS1_19lookback_scan_stateINS0_5tupleIJjfEEELb0ELb1EEEfNS1_16block_id_wrapperIjLb0EEEEEvT_jbjPmPT0_T1_
		.amdhsa_group_segment_fixed_size 0
		.amdhsa_private_segment_fixed_size 0
		.amdhsa_kernarg_size 304
		.amdhsa_user_sgpr_count 6
		.amdhsa_user_sgpr_private_segment_buffer 1
		.amdhsa_user_sgpr_dispatch_ptr 0
		.amdhsa_user_sgpr_queue_ptr 0
		.amdhsa_user_sgpr_kernarg_segment_ptr 1
		.amdhsa_user_sgpr_dispatch_id 0
		.amdhsa_user_sgpr_flat_scratch_init 0
		.amdhsa_user_sgpr_private_segment_size 0
		.amdhsa_wavefront_size32 1
		.amdhsa_uses_dynamic_stack 0
		.amdhsa_system_sgpr_private_segment_wavefront_offset 0
		.amdhsa_system_sgpr_workgroup_id_x 1
		.amdhsa_system_sgpr_workgroup_id_y 0
		.amdhsa_system_sgpr_workgroup_id_z 0
		.amdhsa_system_sgpr_workgroup_info 0
		.amdhsa_system_vgpr_workitem_id 0
		.amdhsa_next_free_vgpr 11
		.amdhsa_next_free_sgpr 16
		.amdhsa_reserve_vcc 1
		.amdhsa_reserve_flat_scratch 0
		.amdhsa_float_round_mode_32 0
		.amdhsa_float_round_mode_16_64 0
		.amdhsa_float_denorm_mode_32 3
		.amdhsa_float_denorm_mode_16_64 3
		.amdhsa_dx10_clamp 1
		.amdhsa_ieee_mode 1
		.amdhsa_fp16_overflow 0
		.amdhsa_workgroup_processor_mode 1
		.amdhsa_memory_ordered 1
		.amdhsa_forward_progress 1
		.amdhsa_shared_vgpr_count 0
		.amdhsa_exception_fp_ieee_invalid_op 0
		.amdhsa_exception_fp_denorm_src 0
		.amdhsa_exception_fp_ieee_div_zero 0
		.amdhsa_exception_fp_ieee_overflow 0
		.amdhsa_exception_fp_ieee_underflow 0
		.amdhsa_exception_fp_ieee_inexact 0
		.amdhsa_exception_int_div_zero 0
	.end_amdhsa_kernel
	.section	.text._ZN7rocprim17ROCPRIM_400000_NS6detail25reduce_by_key_init_kernelINS1_19lookback_scan_stateINS0_5tupleIJjfEEELb0ELb1EEEfNS1_16block_id_wrapperIjLb0EEEEEvT_jbjPmPT0_T1_,"axG",@progbits,_ZN7rocprim17ROCPRIM_400000_NS6detail25reduce_by_key_init_kernelINS1_19lookback_scan_stateINS0_5tupleIJjfEEELb0ELb1EEEfNS1_16block_id_wrapperIjLb0EEEEEvT_jbjPmPT0_T1_,comdat
.Lfunc_end65:
	.size	_ZN7rocprim17ROCPRIM_400000_NS6detail25reduce_by_key_init_kernelINS1_19lookback_scan_stateINS0_5tupleIJjfEEELb0ELb1EEEfNS1_16block_id_wrapperIjLb0EEEEEvT_jbjPmPT0_T1_, .Lfunc_end65-_ZN7rocprim17ROCPRIM_400000_NS6detail25reduce_by_key_init_kernelINS1_19lookback_scan_stateINS0_5tupleIJjfEEELb0ELb1EEEfNS1_16block_id_wrapperIjLb0EEEEEvT_jbjPmPT0_T1_
                                        ; -- End function
	.set _ZN7rocprim17ROCPRIM_400000_NS6detail25reduce_by_key_init_kernelINS1_19lookback_scan_stateINS0_5tupleIJjfEEELb0ELb1EEEfNS1_16block_id_wrapperIjLb0EEEEEvT_jbjPmPT0_T1_.num_vgpr, 11
	.set _ZN7rocprim17ROCPRIM_400000_NS6detail25reduce_by_key_init_kernelINS1_19lookback_scan_stateINS0_5tupleIJjfEEELb0ELb1EEEfNS1_16block_id_wrapperIjLb0EEEEEvT_jbjPmPT0_T1_.num_agpr, 0
	.set _ZN7rocprim17ROCPRIM_400000_NS6detail25reduce_by_key_init_kernelINS1_19lookback_scan_stateINS0_5tupleIJjfEEELb0ELb1EEEfNS1_16block_id_wrapperIjLb0EEEEEvT_jbjPmPT0_T1_.numbered_sgpr, 16
	.set _ZN7rocprim17ROCPRIM_400000_NS6detail25reduce_by_key_init_kernelINS1_19lookback_scan_stateINS0_5tupleIJjfEEELb0ELb1EEEfNS1_16block_id_wrapperIjLb0EEEEEvT_jbjPmPT0_T1_.num_named_barrier, 0
	.set _ZN7rocprim17ROCPRIM_400000_NS6detail25reduce_by_key_init_kernelINS1_19lookback_scan_stateINS0_5tupleIJjfEEELb0ELb1EEEfNS1_16block_id_wrapperIjLb0EEEEEvT_jbjPmPT0_T1_.private_seg_size, 0
	.set _ZN7rocprim17ROCPRIM_400000_NS6detail25reduce_by_key_init_kernelINS1_19lookback_scan_stateINS0_5tupleIJjfEEELb0ELb1EEEfNS1_16block_id_wrapperIjLb0EEEEEvT_jbjPmPT0_T1_.uses_vcc, 1
	.set _ZN7rocprim17ROCPRIM_400000_NS6detail25reduce_by_key_init_kernelINS1_19lookback_scan_stateINS0_5tupleIJjfEEELb0ELb1EEEfNS1_16block_id_wrapperIjLb0EEEEEvT_jbjPmPT0_T1_.uses_flat_scratch, 0
	.set _ZN7rocprim17ROCPRIM_400000_NS6detail25reduce_by_key_init_kernelINS1_19lookback_scan_stateINS0_5tupleIJjfEEELb0ELb1EEEfNS1_16block_id_wrapperIjLb0EEEEEvT_jbjPmPT0_T1_.has_dyn_sized_stack, 0
	.set _ZN7rocprim17ROCPRIM_400000_NS6detail25reduce_by_key_init_kernelINS1_19lookback_scan_stateINS0_5tupleIJjfEEELb0ELb1EEEfNS1_16block_id_wrapperIjLb0EEEEEvT_jbjPmPT0_T1_.has_recursion, 0
	.set _ZN7rocprim17ROCPRIM_400000_NS6detail25reduce_by_key_init_kernelINS1_19lookback_scan_stateINS0_5tupleIJjfEEELb0ELb1EEEfNS1_16block_id_wrapperIjLb0EEEEEvT_jbjPmPT0_T1_.has_indirect_call, 0
	.section	.AMDGPU.csdata,"",@progbits
; Kernel info:
; codeLenInByte = 628
; TotalNumSgprs: 18
; NumVgprs: 11
; ScratchSize: 0
; MemoryBound: 0
; FloatMode: 240
; IeeeMode: 1
; LDSByteSize: 0 bytes/workgroup (compile time only)
; SGPRBlocks: 0
; VGPRBlocks: 1
; NumSGPRsForWavesPerEU: 18
; NumVGPRsForWavesPerEU: 11
; Occupancy: 16
; WaveLimiterHint : 0
; COMPUTE_PGM_RSRC2:SCRATCH_EN: 0
; COMPUTE_PGM_RSRC2:USER_SGPR: 6
; COMPUTE_PGM_RSRC2:TRAP_HANDLER: 0
; COMPUTE_PGM_RSRC2:TGID_X_EN: 1
; COMPUTE_PGM_RSRC2:TGID_Y_EN: 0
; COMPUTE_PGM_RSRC2:TGID_Z_EN: 0
; COMPUTE_PGM_RSRC2:TIDIG_COMP_CNT: 0
	.section	.text._ZN7rocprim17ROCPRIM_400000_NS6detail17trampoline_kernelINS0_14default_configENS1_29reduce_by_key_config_selectorIifN6thrust23THRUST_200600_302600_NS4plusIfEEEEZZNS1_33reduce_by_key_impl_wrapped_configILNS1_25lookback_scan_determinismE0ES3_S9_NS6_6detail15normal_iteratorINS6_10device_ptrIiEEEENSD_INSE_IfEEEESG_SI_PmS8_NS6_8equal_toIiEEEE10hipError_tPvRmT2_T3_mT4_T5_T6_T7_T8_P12ihipStream_tbENKUlT_T0_E_clISt17integral_constantIbLb0EES13_EEDaSY_SZ_EUlSY_E_NS1_11comp_targetILNS1_3genE0ELNS1_11target_archE4294967295ELNS1_3gpuE0ELNS1_3repE0EEENS1_30default_config_static_selectorELNS0_4arch9wavefront6targetE0EEEvT1_,"axG",@progbits,_ZN7rocprim17ROCPRIM_400000_NS6detail17trampoline_kernelINS0_14default_configENS1_29reduce_by_key_config_selectorIifN6thrust23THRUST_200600_302600_NS4plusIfEEEEZZNS1_33reduce_by_key_impl_wrapped_configILNS1_25lookback_scan_determinismE0ES3_S9_NS6_6detail15normal_iteratorINS6_10device_ptrIiEEEENSD_INSE_IfEEEESG_SI_PmS8_NS6_8equal_toIiEEEE10hipError_tPvRmT2_T3_mT4_T5_T6_T7_T8_P12ihipStream_tbENKUlT_T0_E_clISt17integral_constantIbLb0EES13_EEDaSY_SZ_EUlSY_E_NS1_11comp_targetILNS1_3genE0ELNS1_11target_archE4294967295ELNS1_3gpuE0ELNS1_3repE0EEENS1_30default_config_static_selectorELNS0_4arch9wavefront6targetE0EEEvT1_,comdat
	.protected	_ZN7rocprim17ROCPRIM_400000_NS6detail17trampoline_kernelINS0_14default_configENS1_29reduce_by_key_config_selectorIifN6thrust23THRUST_200600_302600_NS4plusIfEEEEZZNS1_33reduce_by_key_impl_wrapped_configILNS1_25lookback_scan_determinismE0ES3_S9_NS6_6detail15normal_iteratorINS6_10device_ptrIiEEEENSD_INSE_IfEEEESG_SI_PmS8_NS6_8equal_toIiEEEE10hipError_tPvRmT2_T3_mT4_T5_T6_T7_T8_P12ihipStream_tbENKUlT_T0_E_clISt17integral_constantIbLb0EES13_EEDaSY_SZ_EUlSY_E_NS1_11comp_targetILNS1_3genE0ELNS1_11target_archE4294967295ELNS1_3gpuE0ELNS1_3repE0EEENS1_30default_config_static_selectorELNS0_4arch9wavefront6targetE0EEEvT1_ ; -- Begin function _ZN7rocprim17ROCPRIM_400000_NS6detail17trampoline_kernelINS0_14default_configENS1_29reduce_by_key_config_selectorIifN6thrust23THRUST_200600_302600_NS4plusIfEEEEZZNS1_33reduce_by_key_impl_wrapped_configILNS1_25lookback_scan_determinismE0ES3_S9_NS6_6detail15normal_iteratorINS6_10device_ptrIiEEEENSD_INSE_IfEEEESG_SI_PmS8_NS6_8equal_toIiEEEE10hipError_tPvRmT2_T3_mT4_T5_T6_T7_T8_P12ihipStream_tbENKUlT_T0_E_clISt17integral_constantIbLb0EES13_EEDaSY_SZ_EUlSY_E_NS1_11comp_targetILNS1_3genE0ELNS1_11target_archE4294967295ELNS1_3gpuE0ELNS1_3repE0EEENS1_30default_config_static_selectorELNS0_4arch9wavefront6targetE0EEEvT1_
	.globl	_ZN7rocprim17ROCPRIM_400000_NS6detail17trampoline_kernelINS0_14default_configENS1_29reduce_by_key_config_selectorIifN6thrust23THRUST_200600_302600_NS4plusIfEEEEZZNS1_33reduce_by_key_impl_wrapped_configILNS1_25lookback_scan_determinismE0ES3_S9_NS6_6detail15normal_iteratorINS6_10device_ptrIiEEEENSD_INSE_IfEEEESG_SI_PmS8_NS6_8equal_toIiEEEE10hipError_tPvRmT2_T3_mT4_T5_T6_T7_T8_P12ihipStream_tbENKUlT_T0_E_clISt17integral_constantIbLb0EES13_EEDaSY_SZ_EUlSY_E_NS1_11comp_targetILNS1_3genE0ELNS1_11target_archE4294967295ELNS1_3gpuE0ELNS1_3repE0EEENS1_30default_config_static_selectorELNS0_4arch9wavefront6targetE0EEEvT1_
	.p2align	8
	.type	_ZN7rocprim17ROCPRIM_400000_NS6detail17trampoline_kernelINS0_14default_configENS1_29reduce_by_key_config_selectorIifN6thrust23THRUST_200600_302600_NS4plusIfEEEEZZNS1_33reduce_by_key_impl_wrapped_configILNS1_25lookback_scan_determinismE0ES3_S9_NS6_6detail15normal_iteratorINS6_10device_ptrIiEEEENSD_INSE_IfEEEESG_SI_PmS8_NS6_8equal_toIiEEEE10hipError_tPvRmT2_T3_mT4_T5_T6_T7_T8_P12ihipStream_tbENKUlT_T0_E_clISt17integral_constantIbLb0EES13_EEDaSY_SZ_EUlSY_E_NS1_11comp_targetILNS1_3genE0ELNS1_11target_archE4294967295ELNS1_3gpuE0ELNS1_3repE0EEENS1_30default_config_static_selectorELNS0_4arch9wavefront6targetE0EEEvT1_,@function
_ZN7rocprim17ROCPRIM_400000_NS6detail17trampoline_kernelINS0_14default_configENS1_29reduce_by_key_config_selectorIifN6thrust23THRUST_200600_302600_NS4plusIfEEEEZZNS1_33reduce_by_key_impl_wrapped_configILNS1_25lookback_scan_determinismE0ES3_S9_NS6_6detail15normal_iteratorINS6_10device_ptrIiEEEENSD_INSE_IfEEEESG_SI_PmS8_NS6_8equal_toIiEEEE10hipError_tPvRmT2_T3_mT4_T5_T6_T7_T8_P12ihipStream_tbENKUlT_T0_E_clISt17integral_constantIbLb0EES13_EEDaSY_SZ_EUlSY_E_NS1_11comp_targetILNS1_3genE0ELNS1_11target_archE4294967295ELNS1_3gpuE0ELNS1_3repE0EEENS1_30default_config_static_selectorELNS0_4arch9wavefront6targetE0EEEvT1_: ; @_ZN7rocprim17ROCPRIM_400000_NS6detail17trampoline_kernelINS0_14default_configENS1_29reduce_by_key_config_selectorIifN6thrust23THRUST_200600_302600_NS4plusIfEEEEZZNS1_33reduce_by_key_impl_wrapped_configILNS1_25lookback_scan_determinismE0ES3_S9_NS6_6detail15normal_iteratorINS6_10device_ptrIiEEEENSD_INSE_IfEEEESG_SI_PmS8_NS6_8equal_toIiEEEE10hipError_tPvRmT2_T3_mT4_T5_T6_T7_T8_P12ihipStream_tbENKUlT_T0_E_clISt17integral_constantIbLb0EES13_EEDaSY_SZ_EUlSY_E_NS1_11comp_targetILNS1_3genE0ELNS1_11target_archE4294967295ELNS1_3gpuE0ELNS1_3repE0EEENS1_30default_config_static_selectorELNS0_4arch9wavefront6targetE0EEEvT1_
; %bb.0:
	.section	.rodata,"a",@progbits
	.p2align	6, 0x0
	.amdhsa_kernel _ZN7rocprim17ROCPRIM_400000_NS6detail17trampoline_kernelINS0_14default_configENS1_29reduce_by_key_config_selectorIifN6thrust23THRUST_200600_302600_NS4plusIfEEEEZZNS1_33reduce_by_key_impl_wrapped_configILNS1_25lookback_scan_determinismE0ES3_S9_NS6_6detail15normal_iteratorINS6_10device_ptrIiEEEENSD_INSE_IfEEEESG_SI_PmS8_NS6_8equal_toIiEEEE10hipError_tPvRmT2_T3_mT4_T5_T6_T7_T8_P12ihipStream_tbENKUlT_T0_E_clISt17integral_constantIbLb0EES13_EEDaSY_SZ_EUlSY_E_NS1_11comp_targetILNS1_3genE0ELNS1_11target_archE4294967295ELNS1_3gpuE0ELNS1_3repE0EEENS1_30default_config_static_selectorELNS0_4arch9wavefront6targetE0EEEvT1_
		.amdhsa_group_segment_fixed_size 0
		.amdhsa_private_segment_fixed_size 0
		.amdhsa_kernarg_size 120
		.amdhsa_user_sgpr_count 6
		.amdhsa_user_sgpr_private_segment_buffer 1
		.amdhsa_user_sgpr_dispatch_ptr 0
		.amdhsa_user_sgpr_queue_ptr 0
		.amdhsa_user_sgpr_kernarg_segment_ptr 1
		.amdhsa_user_sgpr_dispatch_id 0
		.amdhsa_user_sgpr_flat_scratch_init 0
		.amdhsa_user_sgpr_private_segment_size 0
		.amdhsa_wavefront_size32 1
		.amdhsa_uses_dynamic_stack 0
		.amdhsa_system_sgpr_private_segment_wavefront_offset 0
		.amdhsa_system_sgpr_workgroup_id_x 1
		.amdhsa_system_sgpr_workgroup_id_y 0
		.amdhsa_system_sgpr_workgroup_id_z 0
		.amdhsa_system_sgpr_workgroup_info 0
		.amdhsa_system_vgpr_workitem_id 0
		.amdhsa_next_free_vgpr 1
		.amdhsa_next_free_sgpr 1
		.amdhsa_reserve_vcc 0
		.amdhsa_reserve_flat_scratch 0
		.amdhsa_float_round_mode_32 0
		.amdhsa_float_round_mode_16_64 0
		.amdhsa_float_denorm_mode_32 3
		.amdhsa_float_denorm_mode_16_64 3
		.amdhsa_dx10_clamp 1
		.amdhsa_ieee_mode 1
		.amdhsa_fp16_overflow 0
		.amdhsa_workgroup_processor_mode 1
		.amdhsa_memory_ordered 1
		.amdhsa_forward_progress 1
		.amdhsa_shared_vgpr_count 0
		.amdhsa_exception_fp_ieee_invalid_op 0
		.amdhsa_exception_fp_denorm_src 0
		.amdhsa_exception_fp_ieee_div_zero 0
		.amdhsa_exception_fp_ieee_overflow 0
		.amdhsa_exception_fp_ieee_underflow 0
		.amdhsa_exception_fp_ieee_inexact 0
		.amdhsa_exception_int_div_zero 0
	.end_amdhsa_kernel
	.section	.text._ZN7rocprim17ROCPRIM_400000_NS6detail17trampoline_kernelINS0_14default_configENS1_29reduce_by_key_config_selectorIifN6thrust23THRUST_200600_302600_NS4plusIfEEEEZZNS1_33reduce_by_key_impl_wrapped_configILNS1_25lookback_scan_determinismE0ES3_S9_NS6_6detail15normal_iteratorINS6_10device_ptrIiEEEENSD_INSE_IfEEEESG_SI_PmS8_NS6_8equal_toIiEEEE10hipError_tPvRmT2_T3_mT4_T5_T6_T7_T8_P12ihipStream_tbENKUlT_T0_E_clISt17integral_constantIbLb0EES13_EEDaSY_SZ_EUlSY_E_NS1_11comp_targetILNS1_3genE0ELNS1_11target_archE4294967295ELNS1_3gpuE0ELNS1_3repE0EEENS1_30default_config_static_selectorELNS0_4arch9wavefront6targetE0EEEvT1_,"axG",@progbits,_ZN7rocprim17ROCPRIM_400000_NS6detail17trampoline_kernelINS0_14default_configENS1_29reduce_by_key_config_selectorIifN6thrust23THRUST_200600_302600_NS4plusIfEEEEZZNS1_33reduce_by_key_impl_wrapped_configILNS1_25lookback_scan_determinismE0ES3_S9_NS6_6detail15normal_iteratorINS6_10device_ptrIiEEEENSD_INSE_IfEEEESG_SI_PmS8_NS6_8equal_toIiEEEE10hipError_tPvRmT2_T3_mT4_T5_T6_T7_T8_P12ihipStream_tbENKUlT_T0_E_clISt17integral_constantIbLb0EES13_EEDaSY_SZ_EUlSY_E_NS1_11comp_targetILNS1_3genE0ELNS1_11target_archE4294967295ELNS1_3gpuE0ELNS1_3repE0EEENS1_30default_config_static_selectorELNS0_4arch9wavefront6targetE0EEEvT1_,comdat
.Lfunc_end66:
	.size	_ZN7rocprim17ROCPRIM_400000_NS6detail17trampoline_kernelINS0_14default_configENS1_29reduce_by_key_config_selectorIifN6thrust23THRUST_200600_302600_NS4plusIfEEEEZZNS1_33reduce_by_key_impl_wrapped_configILNS1_25lookback_scan_determinismE0ES3_S9_NS6_6detail15normal_iteratorINS6_10device_ptrIiEEEENSD_INSE_IfEEEESG_SI_PmS8_NS6_8equal_toIiEEEE10hipError_tPvRmT2_T3_mT4_T5_T6_T7_T8_P12ihipStream_tbENKUlT_T0_E_clISt17integral_constantIbLb0EES13_EEDaSY_SZ_EUlSY_E_NS1_11comp_targetILNS1_3genE0ELNS1_11target_archE4294967295ELNS1_3gpuE0ELNS1_3repE0EEENS1_30default_config_static_selectorELNS0_4arch9wavefront6targetE0EEEvT1_, .Lfunc_end66-_ZN7rocprim17ROCPRIM_400000_NS6detail17trampoline_kernelINS0_14default_configENS1_29reduce_by_key_config_selectorIifN6thrust23THRUST_200600_302600_NS4plusIfEEEEZZNS1_33reduce_by_key_impl_wrapped_configILNS1_25lookback_scan_determinismE0ES3_S9_NS6_6detail15normal_iteratorINS6_10device_ptrIiEEEENSD_INSE_IfEEEESG_SI_PmS8_NS6_8equal_toIiEEEE10hipError_tPvRmT2_T3_mT4_T5_T6_T7_T8_P12ihipStream_tbENKUlT_T0_E_clISt17integral_constantIbLb0EES13_EEDaSY_SZ_EUlSY_E_NS1_11comp_targetILNS1_3genE0ELNS1_11target_archE4294967295ELNS1_3gpuE0ELNS1_3repE0EEENS1_30default_config_static_selectorELNS0_4arch9wavefront6targetE0EEEvT1_
                                        ; -- End function
	.set _ZN7rocprim17ROCPRIM_400000_NS6detail17trampoline_kernelINS0_14default_configENS1_29reduce_by_key_config_selectorIifN6thrust23THRUST_200600_302600_NS4plusIfEEEEZZNS1_33reduce_by_key_impl_wrapped_configILNS1_25lookback_scan_determinismE0ES3_S9_NS6_6detail15normal_iteratorINS6_10device_ptrIiEEEENSD_INSE_IfEEEESG_SI_PmS8_NS6_8equal_toIiEEEE10hipError_tPvRmT2_T3_mT4_T5_T6_T7_T8_P12ihipStream_tbENKUlT_T0_E_clISt17integral_constantIbLb0EES13_EEDaSY_SZ_EUlSY_E_NS1_11comp_targetILNS1_3genE0ELNS1_11target_archE4294967295ELNS1_3gpuE0ELNS1_3repE0EEENS1_30default_config_static_selectorELNS0_4arch9wavefront6targetE0EEEvT1_.num_vgpr, 0
	.set _ZN7rocprim17ROCPRIM_400000_NS6detail17trampoline_kernelINS0_14default_configENS1_29reduce_by_key_config_selectorIifN6thrust23THRUST_200600_302600_NS4plusIfEEEEZZNS1_33reduce_by_key_impl_wrapped_configILNS1_25lookback_scan_determinismE0ES3_S9_NS6_6detail15normal_iteratorINS6_10device_ptrIiEEEENSD_INSE_IfEEEESG_SI_PmS8_NS6_8equal_toIiEEEE10hipError_tPvRmT2_T3_mT4_T5_T6_T7_T8_P12ihipStream_tbENKUlT_T0_E_clISt17integral_constantIbLb0EES13_EEDaSY_SZ_EUlSY_E_NS1_11comp_targetILNS1_3genE0ELNS1_11target_archE4294967295ELNS1_3gpuE0ELNS1_3repE0EEENS1_30default_config_static_selectorELNS0_4arch9wavefront6targetE0EEEvT1_.num_agpr, 0
	.set _ZN7rocprim17ROCPRIM_400000_NS6detail17trampoline_kernelINS0_14default_configENS1_29reduce_by_key_config_selectorIifN6thrust23THRUST_200600_302600_NS4plusIfEEEEZZNS1_33reduce_by_key_impl_wrapped_configILNS1_25lookback_scan_determinismE0ES3_S9_NS6_6detail15normal_iteratorINS6_10device_ptrIiEEEENSD_INSE_IfEEEESG_SI_PmS8_NS6_8equal_toIiEEEE10hipError_tPvRmT2_T3_mT4_T5_T6_T7_T8_P12ihipStream_tbENKUlT_T0_E_clISt17integral_constantIbLb0EES13_EEDaSY_SZ_EUlSY_E_NS1_11comp_targetILNS1_3genE0ELNS1_11target_archE4294967295ELNS1_3gpuE0ELNS1_3repE0EEENS1_30default_config_static_selectorELNS0_4arch9wavefront6targetE0EEEvT1_.numbered_sgpr, 0
	.set _ZN7rocprim17ROCPRIM_400000_NS6detail17trampoline_kernelINS0_14default_configENS1_29reduce_by_key_config_selectorIifN6thrust23THRUST_200600_302600_NS4plusIfEEEEZZNS1_33reduce_by_key_impl_wrapped_configILNS1_25lookback_scan_determinismE0ES3_S9_NS6_6detail15normal_iteratorINS6_10device_ptrIiEEEENSD_INSE_IfEEEESG_SI_PmS8_NS6_8equal_toIiEEEE10hipError_tPvRmT2_T3_mT4_T5_T6_T7_T8_P12ihipStream_tbENKUlT_T0_E_clISt17integral_constantIbLb0EES13_EEDaSY_SZ_EUlSY_E_NS1_11comp_targetILNS1_3genE0ELNS1_11target_archE4294967295ELNS1_3gpuE0ELNS1_3repE0EEENS1_30default_config_static_selectorELNS0_4arch9wavefront6targetE0EEEvT1_.num_named_barrier, 0
	.set _ZN7rocprim17ROCPRIM_400000_NS6detail17trampoline_kernelINS0_14default_configENS1_29reduce_by_key_config_selectorIifN6thrust23THRUST_200600_302600_NS4plusIfEEEEZZNS1_33reduce_by_key_impl_wrapped_configILNS1_25lookback_scan_determinismE0ES3_S9_NS6_6detail15normal_iteratorINS6_10device_ptrIiEEEENSD_INSE_IfEEEESG_SI_PmS8_NS6_8equal_toIiEEEE10hipError_tPvRmT2_T3_mT4_T5_T6_T7_T8_P12ihipStream_tbENKUlT_T0_E_clISt17integral_constantIbLb0EES13_EEDaSY_SZ_EUlSY_E_NS1_11comp_targetILNS1_3genE0ELNS1_11target_archE4294967295ELNS1_3gpuE0ELNS1_3repE0EEENS1_30default_config_static_selectorELNS0_4arch9wavefront6targetE0EEEvT1_.private_seg_size, 0
	.set _ZN7rocprim17ROCPRIM_400000_NS6detail17trampoline_kernelINS0_14default_configENS1_29reduce_by_key_config_selectorIifN6thrust23THRUST_200600_302600_NS4plusIfEEEEZZNS1_33reduce_by_key_impl_wrapped_configILNS1_25lookback_scan_determinismE0ES3_S9_NS6_6detail15normal_iteratorINS6_10device_ptrIiEEEENSD_INSE_IfEEEESG_SI_PmS8_NS6_8equal_toIiEEEE10hipError_tPvRmT2_T3_mT4_T5_T6_T7_T8_P12ihipStream_tbENKUlT_T0_E_clISt17integral_constantIbLb0EES13_EEDaSY_SZ_EUlSY_E_NS1_11comp_targetILNS1_3genE0ELNS1_11target_archE4294967295ELNS1_3gpuE0ELNS1_3repE0EEENS1_30default_config_static_selectorELNS0_4arch9wavefront6targetE0EEEvT1_.uses_vcc, 0
	.set _ZN7rocprim17ROCPRIM_400000_NS6detail17trampoline_kernelINS0_14default_configENS1_29reduce_by_key_config_selectorIifN6thrust23THRUST_200600_302600_NS4plusIfEEEEZZNS1_33reduce_by_key_impl_wrapped_configILNS1_25lookback_scan_determinismE0ES3_S9_NS6_6detail15normal_iteratorINS6_10device_ptrIiEEEENSD_INSE_IfEEEESG_SI_PmS8_NS6_8equal_toIiEEEE10hipError_tPvRmT2_T3_mT4_T5_T6_T7_T8_P12ihipStream_tbENKUlT_T0_E_clISt17integral_constantIbLb0EES13_EEDaSY_SZ_EUlSY_E_NS1_11comp_targetILNS1_3genE0ELNS1_11target_archE4294967295ELNS1_3gpuE0ELNS1_3repE0EEENS1_30default_config_static_selectorELNS0_4arch9wavefront6targetE0EEEvT1_.uses_flat_scratch, 0
	.set _ZN7rocprim17ROCPRIM_400000_NS6detail17trampoline_kernelINS0_14default_configENS1_29reduce_by_key_config_selectorIifN6thrust23THRUST_200600_302600_NS4plusIfEEEEZZNS1_33reduce_by_key_impl_wrapped_configILNS1_25lookback_scan_determinismE0ES3_S9_NS6_6detail15normal_iteratorINS6_10device_ptrIiEEEENSD_INSE_IfEEEESG_SI_PmS8_NS6_8equal_toIiEEEE10hipError_tPvRmT2_T3_mT4_T5_T6_T7_T8_P12ihipStream_tbENKUlT_T0_E_clISt17integral_constantIbLb0EES13_EEDaSY_SZ_EUlSY_E_NS1_11comp_targetILNS1_3genE0ELNS1_11target_archE4294967295ELNS1_3gpuE0ELNS1_3repE0EEENS1_30default_config_static_selectorELNS0_4arch9wavefront6targetE0EEEvT1_.has_dyn_sized_stack, 0
	.set _ZN7rocprim17ROCPRIM_400000_NS6detail17trampoline_kernelINS0_14default_configENS1_29reduce_by_key_config_selectorIifN6thrust23THRUST_200600_302600_NS4plusIfEEEEZZNS1_33reduce_by_key_impl_wrapped_configILNS1_25lookback_scan_determinismE0ES3_S9_NS6_6detail15normal_iteratorINS6_10device_ptrIiEEEENSD_INSE_IfEEEESG_SI_PmS8_NS6_8equal_toIiEEEE10hipError_tPvRmT2_T3_mT4_T5_T6_T7_T8_P12ihipStream_tbENKUlT_T0_E_clISt17integral_constantIbLb0EES13_EEDaSY_SZ_EUlSY_E_NS1_11comp_targetILNS1_3genE0ELNS1_11target_archE4294967295ELNS1_3gpuE0ELNS1_3repE0EEENS1_30default_config_static_selectorELNS0_4arch9wavefront6targetE0EEEvT1_.has_recursion, 0
	.set _ZN7rocprim17ROCPRIM_400000_NS6detail17trampoline_kernelINS0_14default_configENS1_29reduce_by_key_config_selectorIifN6thrust23THRUST_200600_302600_NS4plusIfEEEEZZNS1_33reduce_by_key_impl_wrapped_configILNS1_25lookback_scan_determinismE0ES3_S9_NS6_6detail15normal_iteratorINS6_10device_ptrIiEEEENSD_INSE_IfEEEESG_SI_PmS8_NS6_8equal_toIiEEEE10hipError_tPvRmT2_T3_mT4_T5_T6_T7_T8_P12ihipStream_tbENKUlT_T0_E_clISt17integral_constantIbLb0EES13_EEDaSY_SZ_EUlSY_E_NS1_11comp_targetILNS1_3genE0ELNS1_11target_archE4294967295ELNS1_3gpuE0ELNS1_3repE0EEENS1_30default_config_static_selectorELNS0_4arch9wavefront6targetE0EEEvT1_.has_indirect_call, 0
	.section	.AMDGPU.csdata,"",@progbits
; Kernel info:
; codeLenInByte = 0
; TotalNumSgprs: 0
; NumVgprs: 0
; ScratchSize: 0
; MemoryBound: 0
; FloatMode: 240
; IeeeMode: 1
; LDSByteSize: 0 bytes/workgroup (compile time only)
; SGPRBlocks: 0
; VGPRBlocks: 0
; NumSGPRsForWavesPerEU: 1
; NumVGPRsForWavesPerEU: 1
; Occupancy: 16
; WaveLimiterHint : 0
; COMPUTE_PGM_RSRC2:SCRATCH_EN: 0
; COMPUTE_PGM_RSRC2:USER_SGPR: 6
; COMPUTE_PGM_RSRC2:TRAP_HANDLER: 0
; COMPUTE_PGM_RSRC2:TGID_X_EN: 1
; COMPUTE_PGM_RSRC2:TGID_Y_EN: 0
; COMPUTE_PGM_RSRC2:TGID_Z_EN: 0
; COMPUTE_PGM_RSRC2:TIDIG_COMP_CNT: 0
	.section	.text._ZN7rocprim17ROCPRIM_400000_NS6detail17trampoline_kernelINS0_14default_configENS1_29reduce_by_key_config_selectorIifN6thrust23THRUST_200600_302600_NS4plusIfEEEEZZNS1_33reduce_by_key_impl_wrapped_configILNS1_25lookback_scan_determinismE0ES3_S9_NS6_6detail15normal_iteratorINS6_10device_ptrIiEEEENSD_INSE_IfEEEESG_SI_PmS8_NS6_8equal_toIiEEEE10hipError_tPvRmT2_T3_mT4_T5_T6_T7_T8_P12ihipStream_tbENKUlT_T0_E_clISt17integral_constantIbLb0EES13_EEDaSY_SZ_EUlSY_E_NS1_11comp_targetILNS1_3genE5ELNS1_11target_archE942ELNS1_3gpuE9ELNS1_3repE0EEENS1_30default_config_static_selectorELNS0_4arch9wavefront6targetE0EEEvT1_,"axG",@progbits,_ZN7rocprim17ROCPRIM_400000_NS6detail17trampoline_kernelINS0_14default_configENS1_29reduce_by_key_config_selectorIifN6thrust23THRUST_200600_302600_NS4plusIfEEEEZZNS1_33reduce_by_key_impl_wrapped_configILNS1_25lookback_scan_determinismE0ES3_S9_NS6_6detail15normal_iteratorINS6_10device_ptrIiEEEENSD_INSE_IfEEEESG_SI_PmS8_NS6_8equal_toIiEEEE10hipError_tPvRmT2_T3_mT4_T5_T6_T7_T8_P12ihipStream_tbENKUlT_T0_E_clISt17integral_constantIbLb0EES13_EEDaSY_SZ_EUlSY_E_NS1_11comp_targetILNS1_3genE5ELNS1_11target_archE942ELNS1_3gpuE9ELNS1_3repE0EEENS1_30default_config_static_selectorELNS0_4arch9wavefront6targetE0EEEvT1_,comdat
	.protected	_ZN7rocprim17ROCPRIM_400000_NS6detail17trampoline_kernelINS0_14default_configENS1_29reduce_by_key_config_selectorIifN6thrust23THRUST_200600_302600_NS4plusIfEEEEZZNS1_33reduce_by_key_impl_wrapped_configILNS1_25lookback_scan_determinismE0ES3_S9_NS6_6detail15normal_iteratorINS6_10device_ptrIiEEEENSD_INSE_IfEEEESG_SI_PmS8_NS6_8equal_toIiEEEE10hipError_tPvRmT2_T3_mT4_T5_T6_T7_T8_P12ihipStream_tbENKUlT_T0_E_clISt17integral_constantIbLb0EES13_EEDaSY_SZ_EUlSY_E_NS1_11comp_targetILNS1_3genE5ELNS1_11target_archE942ELNS1_3gpuE9ELNS1_3repE0EEENS1_30default_config_static_selectorELNS0_4arch9wavefront6targetE0EEEvT1_ ; -- Begin function _ZN7rocprim17ROCPRIM_400000_NS6detail17trampoline_kernelINS0_14default_configENS1_29reduce_by_key_config_selectorIifN6thrust23THRUST_200600_302600_NS4plusIfEEEEZZNS1_33reduce_by_key_impl_wrapped_configILNS1_25lookback_scan_determinismE0ES3_S9_NS6_6detail15normal_iteratorINS6_10device_ptrIiEEEENSD_INSE_IfEEEESG_SI_PmS8_NS6_8equal_toIiEEEE10hipError_tPvRmT2_T3_mT4_T5_T6_T7_T8_P12ihipStream_tbENKUlT_T0_E_clISt17integral_constantIbLb0EES13_EEDaSY_SZ_EUlSY_E_NS1_11comp_targetILNS1_3genE5ELNS1_11target_archE942ELNS1_3gpuE9ELNS1_3repE0EEENS1_30default_config_static_selectorELNS0_4arch9wavefront6targetE0EEEvT1_
	.globl	_ZN7rocprim17ROCPRIM_400000_NS6detail17trampoline_kernelINS0_14default_configENS1_29reduce_by_key_config_selectorIifN6thrust23THRUST_200600_302600_NS4plusIfEEEEZZNS1_33reduce_by_key_impl_wrapped_configILNS1_25lookback_scan_determinismE0ES3_S9_NS6_6detail15normal_iteratorINS6_10device_ptrIiEEEENSD_INSE_IfEEEESG_SI_PmS8_NS6_8equal_toIiEEEE10hipError_tPvRmT2_T3_mT4_T5_T6_T7_T8_P12ihipStream_tbENKUlT_T0_E_clISt17integral_constantIbLb0EES13_EEDaSY_SZ_EUlSY_E_NS1_11comp_targetILNS1_3genE5ELNS1_11target_archE942ELNS1_3gpuE9ELNS1_3repE0EEENS1_30default_config_static_selectorELNS0_4arch9wavefront6targetE0EEEvT1_
	.p2align	8
	.type	_ZN7rocprim17ROCPRIM_400000_NS6detail17trampoline_kernelINS0_14default_configENS1_29reduce_by_key_config_selectorIifN6thrust23THRUST_200600_302600_NS4plusIfEEEEZZNS1_33reduce_by_key_impl_wrapped_configILNS1_25lookback_scan_determinismE0ES3_S9_NS6_6detail15normal_iteratorINS6_10device_ptrIiEEEENSD_INSE_IfEEEESG_SI_PmS8_NS6_8equal_toIiEEEE10hipError_tPvRmT2_T3_mT4_T5_T6_T7_T8_P12ihipStream_tbENKUlT_T0_E_clISt17integral_constantIbLb0EES13_EEDaSY_SZ_EUlSY_E_NS1_11comp_targetILNS1_3genE5ELNS1_11target_archE942ELNS1_3gpuE9ELNS1_3repE0EEENS1_30default_config_static_selectorELNS0_4arch9wavefront6targetE0EEEvT1_,@function
_ZN7rocprim17ROCPRIM_400000_NS6detail17trampoline_kernelINS0_14default_configENS1_29reduce_by_key_config_selectorIifN6thrust23THRUST_200600_302600_NS4plusIfEEEEZZNS1_33reduce_by_key_impl_wrapped_configILNS1_25lookback_scan_determinismE0ES3_S9_NS6_6detail15normal_iteratorINS6_10device_ptrIiEEEENSD_INSE_IfEEEESG_SI_PmS8_NS6_8equal_toIiEEEE10hipError_tPvRmT2_T3_mT4_T5_T6_T7_T8_P12ihipStream_tbENKUlT_T0_E_clISt17integral_constantIbLb0EES13_EEDaSY_SZ_EUlSY_E_NS1_11comp_targetILNS1_3genE5ELNS1_11target_archE942ELNS1_3gpuE9ELNS1_3repE0EEENS1_30default_config_static_selectorELNS0_4arch9wavefront6targetE0EEEvT1_: ; @_ZN7rocprim17ROCPRIM_400000_NS6detail17trampoline_kernelINS0_14default_configENS1_29reduce_by_key_config_selectorIifN6thrust23THRUST_200600_302600_NS4plusIfEEEEZZNS1_33reduce_by_key_impl_wrapped_configILNS1_25lookback_scan_determinismE0ES3_S9_NS6_6detail15normal_iteratorINS6_10device_ptrIiEEEENSD_INSE_IfEEEESG_SI_PmS8_NS6_8equal_toIiEEEE10hipError_tPvRmT2_T3_mT4_T5_T6_T7_T8_P12ihipStream_tbENKUlT_T0_E_clISt17integral_constantIbLb0EES13_EEDaSY_SZ_EUlSY_E_NS1_11comp_targetILNS1_3genE5ELNS1_11target_archE942ELNS1_3gpuE9ELNS1_3repE0EEENS1_30default_config_static_selectorELNS0_4arch9wavefront6targetE0EEEvT1_
; %bb.0:
	.section	.rodata,"a",@progbits
	.p2align	6, 0x0
	.amdhsa_kernel _ZN7rocprim17ROCPRIM_400000_NS6detail17trampoline_kernelINS0_14default_configENS1_29reduce_by_key_config_selectorIifN6thrust23THRUST_200600_302600_NS4plusIfEEEEZZNS1_33reduce_by_key_impl_wrapped_configILNS1_25lookback_scan_determinismE0ES3_S9_NS6_6detail15normal_iteratorINS6_10device_ptrIiEEEENSD_INSE_IfEEEESG_SI_PmS8_NS6_8equal_toIiEEEE10hipError_tPvRmT2_T3_mT4_T5_T6_T7_T8_P12ihipStream_tbENKUlT_T0_E_clISt17integral_constantIbLb0EES13_EEDaSY_SZ_EUlSY_E_NS1_11comp_targetILNS1_3genE5ELNS1_11target_archE942ELNS1_3gpuE9ELNS1_3repE0EEENS1_30default_config_static_selectorELNS0_4arch9wavefront6targetE0EEEvT1_
		.amdhsa_group_segment_fixed_size 0
		.amdhsa_private_segment_fixed_size 0
		.amdhsa_kernarg_size 120
		.amdhsa_user_sgpr_count 6
		.amdhsa_user_sgpr_private_segment_buffer 1
		.amdhsa_user_sgpr_dispatch_ptr 0
		.amdhsa_user_sgpr_queue_ptr 0
		.amdhsa_user_sgpr_kernarg_segment_ptr 1
		.amdhsa_user_sgpr_dispatch_id 0
		.amdhsa_user_sgpr_flat_scratch_init 0
		.amdhsa_user_sgpr_private_segment_size 0
		.amdhsa_wavefront_size32 1
		.amdhsa_uses_dynamic_stack 0
		.amdhsa_system_sgpr_private_segment_wavefront_offset 0
		.amdhsa_system_sgpr_workgroup_id_x 1
		.amdhsa_system_sgpr_workgroup_id_y 0
		.amdhsa_system_sgpr_workgroup_id_z 0
		.amdhsa_system_sgpr_workgroup_info 0
		.amdhsa_system_vgpr_workitem_id 0
		.amdhsa_next_free_vgpr 1
		.amdhsa_next_free_sgpr 1
		.amdhsa_reserve_vcc 0
		.amdhsa_reserve_flat_scratch 0
		.amdhsa_float_round_mode_32 0
		.amdhsa_float_round_mode_16_64 0
		.amdhsa_float_denorm_mode_32 3
		.amdhsa_float_denorm_mode_16_64 3
		.amdhsa_dx10_clamp 1
		.amdhsa_ieee_mode 1
		.amdhsa_fp16_overflow 0
		.amdhsa_workgroup_processor_mode 1
		.amdhsa_memory_ordered 1
		.amdhsa_forward_progress 1
		.amdhsa_shared_vgpr_count 0
		.amdhsa_exception_fp_ieee_invalid_op 0
		.amdhsa_exception_fp_denorm_src 0
		.amdhsa_exception_fp_ieee_div_zero 0
		.amdhsa_exception_fp_ieee_overflow 0
		.amdhsa_exception_fp_ieee_underflow 0
		.amdhsa_exception_fp_ieee_inexact 0
		.amdhsa_exception_int_div_zero 0
	.end_amdhsa_kernel
	.section	.text._ZN7rocprim17ROCPRIM_400000_NS6detail17trampoline_kernelINS0_14default_configENS1_29reduce_by_key_config_selectorIifN6thrust23THRUST_200600_302600_NS4plusIfEEEEZZNS1_33reduce_by_key_impl_wrapped_configILNS1_25lookback_scan_determinismE0ES3_S9_NS6_6detail15normal_iteratorINS6_10device_ptrIiEEEENSD_INSE_IfEEEESG_SI_PmS8_NS6_8equal_toIiEEEE10hipError_tPvRmT2_T3_mT4_T5_T6_T7_T8_P12ihipStream_tbENKUlT_T0_E_clISt17integral_constantIbLb0EES13_EEDaSY_SZ_EUlSY_E_NS1_11comp_targetILNS1_3genE5ELNS1_11target_archE942ELNS1_3gpuE9ELNS1_3repE0EEENS1_30default_config_static_selectorELNS0_4arch9wavefront6targetE0EEEvT1_,"axG",@progbits,_ZN7rocprim17ROCPRIM_400000_NS6detail17trampoline_kernelINS0_14default_configENS1_29reduce_by_key_config_selectorIifN6thrust23THRUST_200600_302600_NS4plusIfEEEEZZNS1_33reduce_by_key_impl_wrapped_configILNS1_25lookback_scan_determinismE0ES3_S9_NS6_6detail15normal_iteratorINS6_10device_ptrIiEEEENSD_INSE_IfEEEESG_SI_PmS8_NS6_8equal_toIiEEEE10hipError_tPvRmT2_T3_mT4_T5_T6_T7_T8_P12ihipStream_tbENKUlT_T0_E_clISt17integral_constantIbLb0EES13_EEDaSY_SZ_EUlSY_E_NS1_11comp_targetILNS1_3genE5ELNS1_11target_archE942ELNS1_3gpuE9ELNS1_3repE0EEENS1_30default_config_static_selectorELNS0_4arch9wavefront6targetE0EEEvT1_,comdat
.Lfunc_end67:
	.size	_ZN7rocprim17ROCPRIM_400000_NS6detail17trampoline_kernelINS0_14default_configENS1_29reduce_by_key_config_selectorIifN6thrust23THRUST_200600_302600_NS4plusIfEEEEZZNS1_33reduce_by_key_impl_wrapped_configILNS1_25lookback_scan_determinismE0ES3_S9_NS6_6detail15normal_iteratorINS6_10device_ptrIiEEEENSD_INSE_IfEEEESG_SI_PmS8_NS6_8equal_toIiEEEE10hipError_tPvRmT2_T3_mT4_T5_T6_T7_T8_P12ihipStream_tbENKUlT_T0_E_clISt17integral_constantIbLb0EES13_EEDaSY_SZ_EUlSY_E_NS1_11comp_targetILNS1_3genE5ELNS1_11target_archE942ELNS1_3gpuE9ELNS1_3repE0EEENS1_30default_config_static_selectorELNS0_4arch9wavefront6targetE0EEEvT1_, .Lfunc_end67-_ZN7rocprim17ROCPRIM_400000_NS6detail17trampoline_kernelINS0_14default_configENS1_29reduce_by_key_config_selectorIifN6thrust23THRUST_200600_302600_NS4plusIfEEEEZZNS1_33reduce_by_key_impl_wrapped_configILNS1_25lookback_scan_determinismE0ES3_S9_NS6_6detail15normal_iteratorINS6_10device_ptrIiEEEENSD_INSE_IfEEEESG_SI_PmS8_NS6_8equal_toIiEEEE10hipError_tPvRmT2_T3_mT4_T5_T6_T7_T8_P12ihipStream_tbENKUlT_T0_E_clISt17integral_constantIbLb0EES13_EEDaSY_SZ_EUlSY_E_NS1_11comp_targetILNS1_3genE5ELNS1_11target_archE942ELNS1_3gpuE9ELNS1_3repE0EEENS1_30default_config_static_selectorELNS0_4arch9wavefront6targetE0EEEvT1_
                                        ; -- End function
	.set _ZN7rocprim17ROCPRIM_400000_NS6detail17trampoline_kernelINS0_14default_configENS1_29reduce_by_key_config_selectorIifN6thrust23THRUST_200600_302600_NS4plusIfEEEEZZNS1_33reduce_by_key_impl_wrapped_configILNS1_25lookback_scan_determinismE0ES3_S9_NS6_6detail15normal_iteratorINS6_10device_ptrIiEEEENSD_INSE_IfEEEESG_SI_PmS8_NS6_8equal_toIiEEEE10hipError_tPvRmT2_T3_mT4_T5_T6_T7_T8_P12ihipStream_tbENKUlT_T0_E_clISt17integral_constantIbLb0EES13_EEDaSY_SZ_EUlSY_E_NS1_11comp_targetILNS1_3genE5ELNS1_11target_archE942ELNS1_3gpuE9ELNS1_3repE0EEENS1_30default_config_static_selectorELNS0_4arch9wavefront6targetE0EEEvT1_.num_vgpr, 0
	.set _ZN7rocprim17ROCPRIM_400000_NS6detail17trampoline_kernelINS0_14default_configENS1_29reduce_by_key_config_selectorIifN6thrust23THRUST_200600_302600_NS4plusIfEEEEZZNS1_33reduce_by_key_impl_wrapped_configILNS1_25lookback_scan_determinismE0ES3_S9_NS6_6detail15normal_iteratorINS6_10device_ptrIiEEEENSD_INSE_IfEEEESG_SI_PmS8_NS6_8equal_toIiEEEE10hipError_tPvRmT2_T3_mT4_T5_T6_T7_T8_P12ihipStream_tbENKUlT_T0_E_clISt17integral_constantIbLb0EES13_EEDaSY_SZ_EUlSY_E_NS1_11comp_targetILNS1_3genE5ELNS1_11target_archE942ELNS1_3gpuE9ELNS1_3repE0EEENS1_30default_config_static_selectorELNS0_4arch9wavefront6targetE0EEEvT1_.num_agpr, 0
	.set _ZN7rocprim17ROCPRIM_400000_NS6detail17trampoline_kernelINS0_14default_configENS1_29reduce_by_key_config_selectorIifN6thrust23THRUST_200600_302600_NS4plusIfEEEEZZNS1_33reduce_by_key_impl_wrapped_configILNS1_25lookback_scan_determinismE0ES3_S9_NS6_6detail15normal_iteratorINS6_10device_ptrIiEEEENSD_INSE_IfEEEESG_SI_PmS8_NS6_8equal_toIiEEEE10hipError_tPvRmT2_T3_mT4_T5_T6_T7_T8_P12ihipStream_tbENKUlT_T0_E_clISt17integral_constantIbLb0EES13_EEDaSY_SZ_EUlSY_E_NS1_11comp_targetILNS1_3genE5ELNS1_11target_archE942ELNS1_3gpuE9ELNS1_3repE0EEENS1_30default_config_static_selectorELNS0_4arch9wavefront6targetE0EEEvT1_.numbered_sgpr, 0
	.set _ZN7rocprim17ROCPRIM_400000_NS6detail17trampoline_kernelINS0_14default_configENS1_29reduce_by_key_config_selectorIifN6thrust23THRUST_200600_302600_NS4plusIfEEEEZZNS1_33reduce_by_key_impl_wrapped_configILNS1_25lookback_scan_determinismE0ES3_S9_NS6_6detail15normal_iteratorINS6_10device_ptrIiEEEENSD_INSE_IfEEEESG_SI_PmS8_NS6_8equal_toIiEEEE10hipError_tPvRmT2_T3_mT4_T5_T6_T7_T8_P12ihipStream_tbENKUlT_T0_E_clISt17integral_constantIbLb0EES13_EEDaSY_SZ_EUlSY_E_NS1_11comp_targetILNS1_3genE5ELNS1_11target_archE942ELNS1_3gpuE9ELNS1_3repE0EEENS1_30default_config_static_selectorELNS0_4arch9wavefront6targetE0EEEvT1_.num_named_barrier, 0
	.set _ZN7rocprim17ROCPRIM_400000_NS6detail17trampoline_kernelINS0_14default_configENS1_29reduce_by_key_config_selectorIifN6thrust23THRUST_200600_302600_NS4plusIfEEEEZZNS1_33reduce_by_key_impl_wrapped_configILNS1_25lookback_scan_determinismE0ES3_S9_NS6_6detail15normal_iteratorINS6_10device_ptrIiEEEENSD_INSE_IfEEEESG_SI_PmS8_NS6_8equal_toIiEEEE10hipError_tPvRmT2_T3_mT4_T5_T6_T7_T8_P12ihipStream_tbENKUlT_T0_E_clISt17integral_constantIbLb0EES13_EEDaSY_SZ_EUlSY_E_NS1_11comp_targetILNS1_3genE5ELNS1_11target_archE942ELNS1_3gpuE9ELNS1_3repE0EEENS1_30default_config_static_selectorELNS0_4arch9wavefront6targetE0EEEvT1_.private_seg_size, 0
	.set _ZN7rocprim17ROCPRIM_400000_NS6detail17trampoline_kernelINS0_14default_configENS1_29reduce_by_key_config_selectorIifN6thrust23THRUST_200600_302600_NS4plusIfEEEEZZNS1_33reduce_by_key_impl_wrapped_configILNS1_25lookback_scan_determinismE0ES3_S9_NS6_6detail15normal_iteratorINS6_10device_ptrIiEEEENSD_INSE_IfEEEESG_SI_PmS8_NS6_8equal_toIiEEEE10hipError_tPvRmT2_T3_mT4_T5_T6_T7_T8_P12ihipStream_tbENKUlT_T0_E_clISt17integral_constantIbLb0EES13_EEDaSY_SZ_EUlSY_E_NS1_11comp_targetILNS1_3genE5ELNS1_11target_archE942ELNS1_3gpuE9ELNS1_3repE0EEENS1_30default_config_static_selectorELNS0_4arch9wavefront6targetE0EEEvT1_.uses_vcc, 0
	.set _ZN7rocprim17ROCPRIM_400000_NS6detail17trampoline_kernelINS0_14default_configENS1_29reduce_by_key_config_selectorIifN6thrust23THRUST_200600_302600_NS4plusIfEEEEZZNS1_33reduce_by_key_impl_wrapped_configILNS1_25lookback_scan_determinismE0ES3_S9_NS6_6detail15normal_iteratorINS6_10device_ptrIiEEEENSD_INSE_IfEEEESG_SI_PmS8_NS6_8equal_toIiEEEE10hipError_tPvRmT2_T3_mT4_T5_T6_T7_T8_P12ihipStream_tbENKUlT_T0_E_clISt17integral_constantIbLb0EES13_EEDaSY_SZ_EUlSY_E_NS1_11comp_targetILNS1_3genE5ELNS1_11target_archE942ELNS1_3gpuE9ELNS1_3repE0EEENS1_30default_config_static_selectorELNS0_4arch9wavefront6targetE0EEEvT1_.uses_flat_scratch, 0
	.set _ZN7rocprim17ROCPRIM_400000_NS6detail17trampoline_kernelINS0_14default_configENS1_29reduce_by_key_config_selectorIifN6thrust23THRUST_200600_302600_NS4plusIfEEEEZZNS1_33reduce_by_key_impl_wrapped_configILNS1_25lookback_scan_determinismE0ES3_S9_NS6_6detail15normal_iteratorINS6_10device_ptrIiEEEENSD_INSE_IfEEEESG_SI_PmS8_NS6_8equal_toIiEEEE10hipError_tPvRmT2_T3_mT4_T5_T6_T7_T8_P12ihipStream_tbENKUlT_T0_E_clISt17integral_constantIbLb0EES13_EEDaSY_SZ_EUlSY_E_NS1_11comp_targetILNS1_3genE5ELNS1_11target_archE942ELNS1_3gpuE9ELNS1_3repE0EEENS1_30default_config_static_selectorELNS0_4arch9wavefront6targetE0EEEvT1_.has_dyn_sized_stack, 0
	.set _ZN7rocprim17ROCPRIM_400000_NS6detail17trampoline_kernelINS0_14default_configENS1_29reduce_by_key_config_selectorIifN6thrust23THRUST_200600_302600_NS4plusIfEEEEZZNS1_33reduce_by_key_impl_wrapped_configILNS1_25lookback_scan_determinismE0ES3_S9_NS6_6detail15normal_iteratorINS6_10device_ptrIiEEEENSD_INSE_IfEEEESG_SI_PmS8_NS6_8equal_toIiEEEE10hipError_tPvRmT2_T3_mT4_T5_T6_T7_T8_P12ihipStream_tbENKUlT_T0_E_clISt17integral_constantIbLb0EES13_EEDaSY_SZ_EUlSY_E_NS1_11comp_targetILNS1_3genE5ELNS1_11target_archE942ELNS1_3gpuE9ELNS1_3repE0EEENS1_30default_config_static_selectorELNS0_4arch9wavefront6targetE0EEEvT1_.has_recursion, 0
	.set _ZN7rocprim17ROCPRIM_400000_NS6detail17trampoline_kernelINS0_14default_configENS1_29reduce_by_key_config_selectorIifN6thrust23THRUST_200600_302600_NS4plusIfEEEEZZNS1_33reduce_by_key_impl_wrapped_configILNS1_25lookback_scan_determinismE0ES3_S9_NS6_6detail15normal_iteratorINS6_10device_ptrIiEEEENSD_INSE_IfEEEESG_SI_PmS8_NS6_8equal_toIiEEEE10hipError_tPvRmT2_T3_mT4_T5_T6_T7_T8_P12ihipStream_tbENKUlT_T0_E_clISt17integral_constantIbLb0EES13_EEDaSY_SZ_EUlSY_E_NS1_11comp_targetILNS1_3genE5ELNS1_11target_archE942ELNS1_3gpuE9ELNS1_3repE0EEENS1_30default_config_static_selectorELNS0_4arch9wavefront6targetE0EEEvT1_.has_indirect_call, 0
	.section	.AMDGPU.csdata,"",@progbits
; Kernel info:
; codeLenInByte = 0
; TotalNumSgprs: 0
; NumVgprs: 0
; ScratchSize: 0
; MemoryBound: 0
; FloatMode: 240
; IeeeMode: 1
; LDSByteSize: 0 bytes/workgroup (compile time only)
; SGPRBlocks: 0
; VGPRBlocks: 0
; NumSGPRsForWavesPerEU: 1
; NumVGPRsForWavesPerEU: 1
; Occupancy: 16
; WaveLimiterHint : 0
; COMPUTE_PGM_RSRC2:SCRATCH_EN: 0
; COMPUTE_PGM_RSRC2:USER_SGPR: 6
; COMPUTE_PGM_RSRC2:TRAP_HANDLER: 0
; COMPUTE_PGM_RSRC2:TGID_X_EN: 1
; COMPUTE_PGM_RSRC2:TGID_Y_EN: 0
; COMPUTE_PGM_RSRC2:TGID_Z_EN: 0
; COMPUTE_PGM_RSRC2:TIDIG_COMP_CNT: 0
	.section	.text._ZN7rocprim17ROCPRIM_400000_NS6detail17trampoline_kernelINS0_14default_configENS1_29reduce_by_key_config_selectorIifN6thrust23THRUST_200600_302600_NS4plusIfEEEEZZNS1_33reduce_by_key_impl_wrapped_configILNS1_25lookback_scan_determinismE0ES3_S9_NS6_6detail15normal_iteratorINS6_10device_ptrIiEEEENSD_INSE_IfEEEESG_SI_PmS8_NS6_8equal_toIiEEEE10hipError_tPvRmT2_T3_mT4_T5_T6_T7_T8_P12ihipStream_tbENKUlT_T0_E_clISt17integral_constantIbLb0EES13_EEDaSY_SZ_EUlSY_E_NS1_11comp_targetILNS1_3genE4ELNS1_11target_archE910ELNS1_3gpuE8ELNS1_3repE0EEENS1_30default_config_static_selectorELNS0_4arch9wavefront6targetE0EEEvT1_,"axG",@progbits,_ZN7rocprim17ROCPRIM_400000_NS6detail17trampoline_kernelINS0_14default_configENS1_29reduce_by_key_config_selectorIifN6thrust23THRUST_200600_302600_NS4plusIfEEEEZZNS1_33reduce_by_key_impl_wrapped_configILNS1_25lookback_scan_determinismE0ES3_S9_NS6_6detail15normal_iteratorINS6_10device_ptrIiEEEENSD_INSE_IfEEEESG_SI_PmS8_NS6_8equal_toIiEEEE10hipError_tPvRmT2_T3_mT4_T5_T6_T7_T8_P12ihipStream_tbENKUlT_T0_E_clISt17integral_constantIbLb0EES13_EEDaSY_SZ_EUlSY_E_NS1_11comp_targetILNS1_3genE4ELNS1_11target_archE910ELNS1_3gpuE8ELNS1_3repE0EEENS1_30default_config_static_selectorELNS0_4arch9wavefront6targetE0EEEvT1_,comdat
	.protected	_ZN7rocprim17ROCPRIM_400000_NS6detail17trampoline_kernelINS0_14default_configENS1_29reduce_by_key_config_selectorIifN6thrust23THRUST_200600_302600_NS4plusIfEEEEZZNS1_33reduce_by_key_impl_wrapped_configILNS1_25lookback_scan_determinismE0ES3_S9_NS6_6detail15normal_iteratorINS6_10device_ptrIiEEEENSD_INSE_IfEEEESG_SI_PmS8_NS6_8equal_toIiEEEE10hipError_tPvRmT2_T3_mT4_T5_T6_T7_T8_P12ihipStream_tbENKUlT_T0_E_clISt17integral_constantIbLb0EES13_EEDaSY_SZ_EUlSY_E_NS1_11comp_targetILNS1_3genE4ELNS1_11target_archE910ELNS1_3gpuE8ELNS1_3repE0EEENS1_30default_config_static_selectorELNS0_4arch9wavefront6targetE0EEEvT1_ ; -- Begin function _ZN7rocprim17ROCPRIM_400000_NS6detail17trampoline_kernelINS0_14default_configENS1_29reduce_by_key_config_selectorIifN6thrust23THRUST_200600_302600_NS4plusIfEEEEZZNS1_33reduce_by_key_impl_wrapped_configILNS1_25lookback_scan_determinismE0ES3_S9_NS6_6detail15normal_iteratorINS6_10device_ptrIiEEEENSD_INSE_IfEEEESG_SI_PmS8_NS6_8equal_toIiEEEE10hipError_tPvRmT2_T3_mT4_T5_T6_T7_T8_P12ihipStream_tbENKUlT_T0_E_clISt17integral_constantIbLb0EES13_EEDaSY_SZ_EUlSY_E_NS1_11comp_targetILNS1_3genE4ELNS1_11target_archE910ELNS1_3gpuE8ELNS1_3repE0EEENS1_30default_config_static_selectorELNS0_4arch9wavefront6targetE0EEEvT1_
	.globl	_ZN7rocprim17ROCPRIM_400000_NS6detail17trampoline_kernelINS0_14default_configENS1_29reduce_by_key_config_selectorIifN6thrust23THRUST_200600_302600_NS4plusIfEEEEZZNS1_33reduce_by_key_impl_wrapped_configILNS1_25lookback_scan_determinismE0ES3_S9_NS6_6detail15normal_iteratorINS6_10device_ptrIiEEEENSD_INSE_IfEEEESG_SI_PmS8_NS6_8equal_toIiEEEE10hipError_tPvRmT2_T3_mT4_T5_T6_T7_T8_P12ihipStream_tbENKUlT_T0_E_clISt17integral_constantIbLb0EES13_EEDaSY_SZ_EUlSY_E_NS1_11comp_targetILNS1_3genE4ELNS1_11target_archE910ELNS1_3gpuE8ELNS1_3repE0EEENS1_30default_config_static_selectorELNS0_4arch9wavefront6targetE0EEEvT1_
	.p2align	8
	.type	_ZN7rocprim17ROCPRIM_400000_NS6detail17trampoline_kernelINS0_14default_configENS1_29reduce_by_key_config_selectorIifN6thrust23THRUST_200600_302600_NS4plusIfEEEEZZNS1_33reduce_by_key_impl_wrapped_configILNS1_25lookback_scan_determinismE0ES3_S9_NS6_6detail15normal_iteratorINS6_10device_ptrIiEEEENSD_INSE_IfEEEESG_SI_PmS8_NS6_8equal_toIiEEEE10hipError_tPvRmT2_T3_mT4_T5_T6_T7_T8_P12ihipStream_tbENKUlT_T0_E_clISt17integral_constantIbLb0EES13_EEDaSY_SZ_EUlSY_E_NS1_11comp_targetILNS1_3genE4ELNS1_11target_archE910ELNS1_3gpuE8ELNS1_3repE0EEENS1_30default_config_static_selectorELNS0_4arch9wavefront6targetE0EEEvT1_,@function
_ZN7rocprim17ROCPRIM_400000_NS6detail17trampoline_kernelINS0_14default_configENS1_29reduce_by_key_config_selectorIifN6thrust23THRUST_200600_302600_NS4plusIfEEEEZZNS1_33reduce_by_key_impl_wrapped_configILNS1_25lookback_scan_determinismE0ES3_S9_NS6_6detail15normal_iteratorINS6_10device_ptrIiEEEENSD_INSE_IfEEEESG_SI_PmS8_NS6_8equal_toIiEEEE10hipError_tPvRmT2_T3_mT4_T5_T6_T7_T8_P12ihipStream_tbENKUlT_T0_E_clISt17integral_constantIbLb0EES13_EEDaSY_SZ_EUlSY_E_NS1_11comp_targetILNS1_3genE4ELNS1_11target_archE910ELNS1_3gpuE8ELNS1_3repE0EEENS1_30default_config_static_selectorELNS0_4arch9wavefront6targetE0EEEvT1_: ; @_ZN7rocprim17ROCPRIM_400000_NS6detail17trampoline_kernelINS0_14default_configENS1_29reduce_by_key_config_selectorIifN6thrust23THRUST_200600_302600_NS4plusIfEEEEZZNS1_33reduce_by_key_impl_wrapped_configILNS1_25lookback_scan_determinismE0ES3_S9_NS6_6detail15normal_iteratorINS6_10device_ptrIiEEEENSD_INSE_IfEEEESG_SI_PmS8_NS6_8equal_toIiEEEE10hipError_tPvRmT2_T3_mT4_T5_T6_T7_T8_P12ihipStream_tbENKUlT_T0_E_clISt17integral_constantIbLb0EES13_EEDaSY_SZ_EUlSY_E_NS1_11comp_targetILNS1_3genE4ELNS1_11target_archE910ELNS1_3gpuE8ELNS1_3repE0EEENS1_30default_config_static_selectorELNS0_4arch9wavefront6targetE0EEEvT1_
; %bb.0:
	.section	.rodata,"a",@progbits
	.p2align	6, 0x0
	.amdhsa_kernel _ZN7rocprim17ROCPRIM_400000_NS6detail17trampoline_kernelINS0_14default_configENS1_29reduce_by_key_config_selectorIifN6thrust23THRUST_200600_302600_NS4plusIfEEEEZZNS1_33reduce_by_key_impl_wrapped_configILNS1_25lookback_scan_determinismE0ES3_S9_NS6_6detail15normal_iteratorINS6_10device_ptrIiEEEENSD_INSE_IfEEEESG_SI_PmS8_NS6_8equal_toIiEEEE10hipError_tPvRmT2_T3_mT4_T5_T6_T7_T8_P12ihipStream_tbENKUlT_T0_E_clISt17integral_constantIbLb0EES13_EEDaSY_SZ_EUlSY_E_NS1_11comp_targetILNS1_3genE4ELNS1_11target_archE910ELNS1_3gpuE8ELNS1_3repE0EEENS1_30default_config_static_selectorELNS0_4arch9wavefront6targetE0EEEvT1_
		.amdhsa_group_segment_fixed_size 0
		.amdhsa_private_segment_fixed_size 0
		.amdhsa_kernarg_size 120
		.amdhsa_user_sgpr_count 6
		.amdhsa_user_sgpr_private_segment_buffer 1
		.amdhsa_user_sgpr_dispatch_ptr 0
		.amdhsa_user_sgpr_queue_ptr 0
		.amdhsa_user_sgpr_kernarg_segment_ptr 1
		.amdhsa_user_sgpr_dispatch_id 0
		.amdhsa_user_sgpr_flat_scratch_init 0
		.amdhsa_user_sgpr_private_segment_size 0
		.amdhsa_wavefront_size32 1
		.amdhsa_uses_dynamic_stack 0
		.amdhsa_system_sgpr_private_segment_wavefront_offset 0
		.amdhsa_system_sgpr_workgroup_id_x 1
		.amdhsa_system_sgpr_workgroup_id_y 0
		.amdhsa_system_sgpr_workgroup_id_z 0
		.amdhsa_system_sgpr_workgroup_info 0
		.amdhsa_system_vgpr_workitem_id 0
		.amdhsa_next_free_vgpr 1
		.amdhsa_next_free_sgpr 1
		.amdhsa_reserve_vcc 0
		.amdhsa_reserve_flat_scratch 0
		.amdhsa_float_round_mode_32 0
		.amdhsa_float_round_mode_16_64 0
		.amdhsa_float_denorm_mode_32 3
		.amdhsa_float_denorm_mode_16_64 3
		.amdhsa_dx10_clamp 1
		.amdhsa_ieee_mode 1
		.amdhsa_fp16_overflow 0
		.amdhsa_workgroup_processor_mode 1
		.amdhsa_memory_ordered 1
		.amdhsa_forward_progress 1
		.amdhsa_shared_vgpr_count 0
		.amdhsa_exception_fp_ieee_invalid_op 0
		.amdhsa_exception_fp_denorm_src 0
		.amdhsa_exception_fp_ieee_div_zero 0
		.amdhsa_exception_fp_ieee_overflow 0
		.amdhsa_exception_fp_ieee_underflow 0
		.amdhsa_exception_fp_ieee_inexact 0
		.amdhsa_exception_int_div_zero 0
	.end_amdhsa_kernel
	.section	.text._ZN7rocprim17ROCPRIM_400000_NS6detail17trampoline_kernelINS0_14default_configENS1_29reduce_by_key_config_selectorIifN6thrust23THRUST_200600_302600_NS4plusIfEEEEZZNS1_33reduce_by_key_impl_wrapped_configILNS1_25lookback_scan_determinismE0ES3_S9_NS6_6detail15normal_iteratorINS6_10device_ptrIiEEEENSD_INSE_IfEEEESG_SI_PmS8_NS6_8equal_toIiEEEE10hipError_tPvRmT2_T3_mT4_T5_T6_T7_T8_P12ihipStream_tbENKUlT_T0_E_clISt17integral_constantIbLb0EES13_EEDaSY_SZ_EUlSY_E_NS1_11comp_targetILNS1_3genE4ELNS1_11target_archE910ELNS1_3gpuE8ELNS1_3repE0EEENS1_30default_config_static_selectorELNS0_4arch9wavefront6targetE0EEEvT1_,"axG",@progbits,_ZN7rocprim17ROCPRIM_400000_NS6detail17trampoline_kernelINS0_14default_configENS1_29reduce_by_key_config_selectorIifN6thrust23THRUST_200600_302600_NS4plusIfEEEEZZNS1_33reduce_by_key_impl_wrapped_configILNS1_25lookback_scan_determinismE0ES3_S9_NS6_6detail15normal_iteratorINS6_10device_ptrIiEEEENSD_INSE_IfEEEESG_SI_PmS8_NS6_8equal_toIiEEEE10hipError_tPvRmT2_T3_mT4_T5_T6_T7_T8_P12ihipStream_tbENKUlT_T0_E_clISt17integral_constantIbLb0EES13_EEDaSY_SZ_EUlSY_E_NS1_11comp_targetILNS1_3genE4ELNS1_11target_archE910ELNS1_3gpuE8ELNS1_3repE0EEENS1_30default_config_static_selectorELNS0_4arch9wavefront6targetE0EEEvT1_,comdat
.Lfunc_end68:
	.size	_ZN7rocprim17ROCPRIM_400000_NS6detail17trampoline_kernelINS0_14default_configENS1_29reduce_by_key_config_selectorIifN6thrust23THRUST_200600_302600_NS4plusIfEEEEZZNS1_33reduce_by_key_impl_wrapped_configILNS1_25lookback_scan_determinismE0ES3_S9_NS6_6detail15normal_iteratorINS6_10device_ptrIiEEEENSD_INSE_IfEEEESG_SI_PmS8_NS6_8equal_toIiEEEE10hipError_tPvRmT2_T3_mT4_T5_T6_T7_T8_P12ihipStream_tbENKUlT_T0_E_clISt17integral_constantIbLb0EES13_EEDaSY_SZ_EUlSY_E_NS1_11comp_targetILNS1_3genE4ELNS1_11target_archE910ELNS1_3gpuE8ELNS1_3repE0EEENS1_30default_config_static_selectorELNS0_4arch9wavefront6targetE0EEEvT1_, .Lfunc_end68-_ZN7rocprim17ROCPRIM_400000_NS6detail17trampoline_kernelINS0_14default_configENS1_29reduce_by_key_config_selectorIifN6thrust23THRUST_200600_302600_NS4plusIfEEEEZZNS1_33reduce_by_key_impl_wrapped_configILNS1_25lookback_scan_determinismE0ES3_S9_NS6_6detail15normal_iteratorINS6_10device_ptrIiEEEENSD_INSE_IfEEEESG_SI_PmS8_NS6_8equal_toIiEEEE10hipError_tPvRmT2_T3_mT4_T5_T6_T7_T8_P12ihipStream_tbENKUlT_T0_E_clISt17integral_constantIbLb0EES13_EEDaSY_SZ_EUlSY_E_NS1_11comp_targetILNS1_3genE4ELNS1_11target_archE910ELNS1_3gpuE8ELNS1_3repE0EEENS1_30default_config_static_selectorELNS0_4arch9wavefront6targetE0EEEvT1_
                                        ; -- End function
	.set _ZN7rocprim17ROCPRIM_400000_NS6detail17trampoline_kernelINS0_14default_configENS1_29reduce_by_key_config_selectorIifN6thrust23THRUST_200600_302600_NS4plusIfEEEEZZNS1_33reduce_by_key_impl_wrapped_configILNS1_25lookback_scan_determinismE0ES3_S9_NS6_6detail15normal_iteratorINS6_10device_ptrIiEEEENSD_INSE_IfEEEESG_SI_PmS8_NS6_8equal_toIiEEEE10hipError_tPvRmT2_T3_mT4_T5_T6_T7_T8_P12ihipStream_tbENKUlT_T0_E_clISt17integral_constantIbLb0EES13_EEDaSY_SZ_EUlSY_E_NS1_11comp_targetILNS1_3genE4ELNS1_11target_archE910ELNS1_3gpuE8ELNS1_3repE0EEENS1_30default_config_static_selectorELNS0_4arch9wavefront6targetE0EEEvT1_.num_vgpr, 0
	.set _ZN7rocprim17ROCPRIM_400000_NS6detail17trampoline_kernelINS0_14default_configENS1_29reduce_by_key_config_selectorIifN6thrust23THRUST_200600_302600_NS4plusIfEEEEZZNS1_33reduce_by_key_impl_wrapped_configILNS1_25lookback_scan_determinismE0ES3_S9_NS6_6detail15normal_iteratorINS6_10device_ptrIiEEEENSD_INSE_IfEEEESG_SI_PmS8_NS6_8equal_toIiEEEE10hipError_tPvRmT2_T3_mT4_T5_T6_T7_T8_P12ihipStream_tbENKUlT_T0_E_clISt17integral_constantIbLb0EES13_EEDaSY_SZ_EUlSY_E_NS1_11comp_targetILNS1_3genE4ELNS1_11target_archE910ELNS1_3gpuE8ELNS1_3repE0EEENS1_30default_config_static_selectorELNS0_4arch9wavefront6targetE0EEEvT1_.num_agpr, 0
	.set _ZN7rocprim17ROCPRIM_400000_NS6detail17trampoline_kernelINS0_14default_configENS1_29reduce_by_key_config_selectorIifN6thrust23THRUST_200600_302600_NS4plusIfEEEEZZNS1_33reduce_by_key_impl_wrapped_configILNS1_25lookback_scan_determinismE0ES3_S9_NS6_6detail15normal_iteratorINS6_10device_ptrIiEEEENSD_INSE_IfEEEESG_SI_PmS8_NS6_8equal_toIiEEEE10hipError_tPvRmT2_T3_mT4_T5_T6_T7_T8_P12ihipStream_tbENKUlT_T0_E_clISt17integral_constantIbLb0EES13_EEDaSY_SZ_EUlSY_E_NS1_11comp_targetILNS1_3genE4ELNS1_11target_archE910ELNS1_3gpuE8ELNS1_3repE0EEENS1_30default_config_static_selectorELNS0_4arch9wavefront6targetE0EEEvT1_.numbered_sgpr, 0
	.set _ZN7rocprim17ROCPRIM_400000_NS6detail17trampoline_kernelINS0_14default_configENS1_29reduce_by_key_config_selectorIifN6thrust23THRUST_200600_302600_NS4plusIfEEEEZZNS1_33reduce_by_key_impl_wrapped_configILNS1_25lookback_scan_determinismE0ES3_S9_NS6_6detail15normal_iteratorINS6_10device_ptrIiEEEENSD_INSE_IfEEEESG_SI_PmS8_NS6_8equal_toIiEEEE10hipError_tPvRmT2_T3_mT4_T5_T6_T7_T8_P12ihipStream_tbENKUlT_T0_E_clISt17integral_constantIbLb0EES13_EEDaSY_SZ_EUlSY_E_NS1_11comp_targetILNS1_3genE4ELNS1_11target_archE910ELNS1_3gpuE8ELNS1_3repE0EEENS1_30default_config_static_selectorELNS0_4arch9wavefront6targetE0EEEvT1_.num_named_barrier, 0
	.set _ZN7rocprim17ROCPRIM_400000_NS6detail17trampoline_kernelINS0_14default_configENS1_29reduce_by_key_config_selectorIifN6thrust23THRUST_200600_302600_NS4plusIfEEEEZZNS1_33reduce_by_key_impl_wrapped_configILNS1_25lookback_scan_determinismE0ES3_S9_NS6_6detail15normal_iteratorINS6_10device_ptrIiEEEENSD_INSE_IfEEEESG_SI_PmS8_NS6_8equal_toIiEEEE10hipError_tPvRmT2_T3_mT4_T5_T6_T7_T8_P12ihipStream_tbENKUlT_T0_E_clISt17integral_constantIbLb0EES13_EEDaSY_SZ_EUlSY_E_NS1_11comp_targetILNS1_3genE4ELNS1_11target_archE910ELNS1_3gpuE8ELNS1_3repE0EEENS1_30default_config_static_selectorELNS0_4arch9wavefront6targetE0EEEvT1_.private_seg_size, 0
	.set _ZN7rocprim17ROCPRIM_400000_NS6detail17trampoline_kernelINS0_14default_configENS1_29reduce_by_key_config_selectorIifN6thrust23THRUST_200600_302600_NS4plusIfEEEEZZNS1_33reduce_by_key_impl_wrapped_configILNS1_25lookback_scan_determinismE0ES3_S9_NS6_6detail15normal_iteratorINS6_10device_ptrIiEEEENSD_INSE_IfEEEESG_SI_PmS8_NS6_8equal_toIiEEEE10hipError_tPvRmT2_T3_mT4_T5_T6_T7_T8_P12ihipStream_tbENKUlT_T0_E_clISt17integral_constantIbLb0EES13_EEDaSY_SZ_EUlSY_E_NS1_11comp_targetILNS1_3genE4ELNS1_11target_archE910ELNS1_3gpuE8ELNS1_3repE0EEENS1_30default_config_static_selectorELNS0_4arch9wavefront6targetE0EEEvT1_.uses_vcc, 0
	.set _ZN7rocprim17ROCPRIM_400000_NS6detail17trampoline_kernelINS0_14default_configENS1_29reduce_by_key_config_selectorIifN6thrust23THRUST_200600_302600_NS4plusIfEEEEZZNS1_33reduce_by_key_impl_wrapped_configILNS1_25lookback_scan_determinismE0ES3_S9_NS6_6detail15normal_iteratorINS6_10device_ptrIiEEEENSD_INSE_IfEEEESG_SI_PmS8_NS6_8equal_toIiEEEE10hipError_tPvRmT2_T3_mT4_T5_T6_T7_T8_P12ihipStream_tbENKUlT_T0_E_clISt17integral_constantIbLb0EES13_EEDaSY_SZ_EUlSY_E_NS1_11comp_targetILNS1_3genE4ELNS1_11target_archE910ELNS1_3gpuE8ELNS1_3repE0EEENS1_30default_config_static_selectorELNS0_4arch9wavefront6targetE0EEEvT1_.uses_flat_scratch, 0
	.set _ZN7rocprim17ROCPRIM_400000_NS6detail17trampoline_kernelINS0_14default_configENS1_29reduce_by_key_config_selectorIifN6thrust23THRUST_200600_302600_NS4plusIfEEEEZZNS1_33reduce_by_key_impl_wrapped_configILNS1_25lookback_scan_determinismE0ES3_S9_NS6_6detail15normal_iteratorINS6_10device_ptrIiEEEENSD_INSE_IfEEEESG_SI_PmS8_NS6_8equal_toIiEEEE10hipError_tPvRmT2_T3_mT4_T5_T6_T7_T8_P12ihipStream_tbENKUlT_T0_E_clISt17integral_constantIbLb0EES13_EEDaSY_SZ_EUlSY_E_NS1_11comp_targetILNS1_3genE4ELNS1_11target_archE910ELNS1_3gpuE8ELNS1_3repE0EEENS1_30default_config_static_selectorELNS0_4arch9wavefront6targetE0EEEvT1_.has_dyn_sized_stack, 0
	.set _ZN7rocprim17ROCPRIM_400000_NS6detail17trampoline_kernelINS0_14default_configENS1_29reduce_by_key_config_selectorIifN6thrust23THRUST_200600_302600_NS4plusIfEEEEZZNS1_33reduce_by_key_impl_wrapped_configILNS1_25lookback_scan_determinismE0ES3_S9_NS6_6detail15normal_iteratorINS6_10device_ptrIiEEEENSD_INSE_IfEEEESG_SI_PmS8_NS6_8equal_toIiEEEE10hipError_tPvRmT2_T3_mT4_T5_T6_T7_T8_P12ihipStream_tbENKUlT_T0_E_clISt17integral_constantIbLb0EES13_EEDaSY_SZ_EUlSY_E_NS1_11comp_targetILNS1_3genE4ELNS1_11target_archE910ELNS1_3gpuE8ELNS1_3repE0EEENS1_30default_config_static_selectorELNS0_4arch9wavefront6targetE0EEEvT1_.has_recursion, 0
	.set _ZN7rocprim17ROCPRIM_400000_NS6detail17trampoline_kernelINS0_14default_configENS1_29reduce_by_key_config_selectorIifN6thrust23THRUST_200600_302600_NS4plusIfEEEEZZNS1_33reduce_by_key_impl_wrapped_configILNS1_25lookback_scan_determinismE0ES3_S9_NS6_6detail15normal_iteratorINS6_10device_ptrIiEEEENSD_INSE_IfEEEESG_SI_PmS8_NS6_8equal_toIiEEEE10hipError_tPvRmT2_T3_mT4_T5_T6_T7_T8_P12ihipStream_tbENKUlT_T0_E_clISt17integral_constantIbLb0EES13_EEDaSY_SZ_EUlSY_E_NS1_11comp_targetILNS1_3genE4ELNS1_11target_archE910ELNS1_3gpuE8ELNS1_3repE0EEENS1_30default_config_static_selectorELNS0_4arch9wavefront6targetE0EEEvT1_.has_indirect_call, 0
	.section	.AMDGPU.csdata,"",@progbits
; Kernel info:
; codeLenInByte = 0
; TotalNumSgprs: 0
; NumVgprs: 0
; ScratchSize: 0
; MemoryBound: 0
; FloatMode: 240
; IeeeMode: 1
; LDSByteSize: 0 bytes/workgroup (compile time only)
; SGPRBlocks: 0
; VGPRBlocks: 0
; NumSGPRsForWavesPerEU: 1
; NumVGPRsForWavesPerEU: 1
; Occupancy: 16
; WaveLimiterHint : 0
; COMPUTE_PGM_RSRC2:SCRATCH_EN: 0
; COMPUTE_PGM_RSRC2:USER_SGPR: 6
; COMPUTE_PGM_RSRC2:TRAP_HANDLER: 0
; COMPUTE_PGM_RSRC2:TGID_X_EN: 1
; COMPUTE_PGM_RSRC2:TGID_Y_EN: 0
; COMPUTE_PGM_RSRC2:TGID_Z_EN: 0
; COMPUTE_PGM_RSRC2:TIDIG_COMP_CNT: 0
	.section	.text._ZN7rocprim17ROCPRIM_400000_NS6detail17trampoline_kernelINS0_14default_configENS1_29reduce_by_key_config_selectorIifN6thrust23THRUST_200600_302600_NS4plusIfEEEEZZNS1_33reduce_by_key_impl_wrapped_configILNS1_25lookback_scan_determinismE0ES3_S9_NS6_6detail15normal_iteratorINS6_10device_ptrIiEEEENSD_INSE_IfEEEESG_SI_PmS8_NS6_8equal_toIiEEEE10hipError_tPvRmT2_T3_mT4_T5_T6_T7_T8_P12ihipStream_tbENKUlT_T0_E_clISt17integral_constantIbLb0EES13_EEDaSY_SZ_EUlSY_E_NS1_11comp_targetILNS1_3genE3ELNS1_11target_archE908ELNS1_3gpuE7ELNS1_3repE0EEENS1_30default_config_static_selectorELNS0_4arch9wavefront6targetE0EEEvT1_,"axG",@progbits,_ZN7rocprim17ROCPRIM_400000_NS6detail17trampoline_kernelINS0_14default_configENS1_29reduce_by_key_config_selectorIifN6thrust23THRUST_200600_302600_NS4plusIfEEEEZZNS1_33reduce_by_key_impl_wrapped_configILNS1_25lookback_scan_determinismE0ES3_S9_NS6_6detail15normal_iteratorINS6_10device_ptrIiEEEENSD_INSE_IfEEEESG_SI_PmS8_NS6_8equal_toIiEEEE10hipError_tPvRmT2_T3_mT4_T5_T6_T7_T8_P12ihipStream_tbENKUlT_T0_E_clISt17integral_constantIbLb0EES13_EEDaSY_SZ_EUlSY_E_NS1_11comp_targetILNS1_3genE3ELNS1_11target_archE908ELNS1_3gpuE7ELNS1_3repE0EEENS1_30default_config_static_selectorELNS0_4arch9wavefront6targetE0EEEvT1_,comdat
	.protected	_ZN7rocprim17ROCPRIM_400000_NS6detail17trampoline_kernelINS0_14default_configENS1_29reduce_by_key_config_selectorIifN6thrust23THRUST_200600_302600_NS4plusIfEEEEZZNS1_33reduce_by_key_impl_wrapped_configILNS1_25lookback_scan_determinismE0ES3_S9_NS6_6detail15normal_iteratorINS6_10device_ptrIiEEEENSD_INSE_IfEEEESG_SI_PmS8_NS6_8equal_toIiEEEE10hipError_tPvRmT2_T3_mT4_T5_T6_T7_T8_P12ihipStream_tbENKUlT_T0_E_clISt17integral_constantIbLb0EES13_EEDaSY_SZ_EUlSY_E_NS1_11comp_targetILNS1_3genE3ELNS1_11target_archE908ELNS1_3gpuE7ELNS1_3repE0EEENS1_30default_config_static_selectorELNS0_4arch9wavefront6targetE0EEEvT1_ ; -- Begin function _ZN7rocprim17ROCPRIM_400000_NS6detail17trampoline_kernelINS0_14default_configENS1_29reduce_by_key_config_selectorIifN6thrust23THRUST_200600_302600_NS4plusIfEEEEZZNS1_33reduce_by_key_impl_wrapped_configILNS1_25lookback_scan_determinismE0ES3_S9_NS6_6detail15normal_iteratorINS6_10device_ptrIiEEEENSD_INSE_IfEEEESG_SI_PmS8_NS6_8equal_toIiEEEE10hipError_tPvRmT2_T3_mT4_T5_T6_T7_T8_P12ihipStream_tbENKUlT_T0_E_clISt17integral_constantIbLb0EES13_EEDaSY_SZ_EUlSY_E_NS1_11comp_targetILNS1_3genE3ELNS1_11target_archE908ELNS1_3gpuE7ELNS1_3repE0EEENS1_30default_config_static_selectorELNS0_4arch9wavefront6targetE0EEEvT1_
	.globl	_ZN7rocprim17ROCPRIM_400000_NS6detail17trampoline_kernelINS0_14default_configENS1_29reduce_by_key_config_selectorIifN6thrust23THRUST_200600_302600_NS4plusIfEEEEZZNS1_33reduce_by_key_impl_wrapped_configILNS1_25lookback_scan_determinismE0ES3_S9_NS6_6detail15normal_iteratorINS6_10device_ptrIiEEEENSD_INSE_IfEEEESG_SI_PmS8_NS6_8equal_toIiEEEE10hipError_tPvRmT2_T3_mT4_T5_T6_T7_T8_P12ihipStream_tbENKUlT_T0_E_clISt17integral_constantIbLb0EES13_EEDaSY_SZ_EUlSY_E_NS1_11comp_targetILNS1_3genE3ELNS1_11target_archE908ELNS1_3gpuE7ELNS1_3repE0EEENS1_30default_config_static_selectorELNS0_4arch9wavefront6targetE0EEEvT1_
	.p2align	8
	.type	_ZN7rocprim17ROCPRIM_400000_NS6detail17trampoline_kernelINS0_14default_configENS1_29reduce_by_key_config_selectorIifN6thrust23THRUST_200600_302600_NS4plusIfEEEEZZNS1_33reduce_by_key_impl_wrapped_configILNS1_25lookback_scan_determinismE0ES3_S9_NS6_6detail15normal_iteratorINS6_10device_ptrIiEEEENSD_INSE_IfEEEESG_SI_PmS8_NS6_8equal_toIiEEEE10hipError_tPvRmT2_T3_mT4_T5_T6_T7_T8_P12ihipStream_tbENKUlT_T0_E_clISt17integral_constantIbLb0EES13_EEDaSY_SZ_EUlSY_E_NS1_11comp_targetILNS1_3genE3ELNS1_11target_archE908ELNS1_3gpuE7ELNS1_3repE0EEENS1_30default_config_static_selectorELNS0_4arch9wavefront6targetE0EEEvT1_,@function
_ZN7rocprim17ROCPRIM_400000_NS6detail17trampoline_kernelINS0_14default_configENS1_29reduce_by_key_config_selectorIifN6thrust23THRUST_200600_302600_NS4plusIfEEEEZZNS1_33reduce_by_key_impl_wrapped_configILNS1_25lookback_scan_determinismE0ES3_S9_NS6_6detail15normal_iteratorINS6_10device_ptrIiEEEENSD_INSE_IfEEEESG_SI_PmS8_NS6_8equal_toIiEEEE10hipError_tPvRmT2_T3_mT4_T5_T6_T7_T8_P12ihipStream_tbENKUlT_T0_E_clISt17integral_constantIbLb0EES13_EEDaSY_SZ_EUlSY_E_NS1_11comp_targetILNS1_3genE3ELNS1_11target_archE908ELNS1_3gpuE7ELNS1_3repE0EEENS1_30default_config_static_selectorELNS0_4arch9wavefront6targetE0EEEvT1_: ; @_ZN7rocprim17ROCPRIM_400000_NS6detail17trampoline_kernelINS0_14default_configENS1_29reduce_by_key_config_selectorIifN6thrust23THRUST_200600_302600_NS4plusIfEEEEZZNS1_33reduce_by_key_impl_wrapped_configILNS1_25lookback_scan_determinismE0ES3_S9_NS6_6detail15normal_iteratorINS6_10device_ptrIiEEEENSD_INSE_IfEEEESG_SI_PmS8_NS6_8equal_toIiEEEE10hipError_tPvRmT2_T3_mT4_T5_T6_T7_T8_P12ihipStream_tbENKUlT_T0_E_clISt17integral_constantIbLb0EES13_EEDaSY_SZ_EUlSY_E_NS1_11comp_targetILNS1_3genE3ELNS1_11target_archE908ELNS1_3gpuE7ELNS1_3repE0EEENS1_30default_config_static_selectorELNS0_4arch9wavefront6targetE0EEEvT1_
; %bb.0:
	.section	.rodata,"a",@progbits
	.p2align	6, 0x0
	.amdhsa_kernel _ZN7rocprim17ROCPRIM_400000_NS6detail17trampoline_kernelINS0_14default_configENS1_29reduce_by_key_config_selectorIifN6thrust23THRUST_200600_302600_NS4plusIfEEEEZZNS1_33reduce_by_key_impl_wrapped_configILNS1_25lookback_scan_determinismE0ES3_S9_NS6_6detail15normal_iteratorINS6_10device_ptrIiEEEENSD_INSE_IfEEEESG_SI_PmS8_NS6_8equal_toIiEEEE10hipError_tPvRmT2_T3_mT4_T5_T6_T7_T8_P12ihipStream_tbENKUlT_T0_E_clISt17integral_constantIbLb0EES13_EEDaSY_SZ_EUlSY_E_NS1_11comp_targetILNS1_3genE3ELNS1_11target_archE908ELNS1_3gpuE7ELNS1_3repE0EEENS1_30default_config_static_selectorELNS0_4arch9wavefront6targetE0EEEvT1_
		.amdhsa_group_segment_fixed_size 0
		.amdhsa_private_segment_fixed_size 0
		.amdhsa_kernarg_size 120
		.amdhsa_user_sgpr_count 6
		.amdhsa_user_sgpr_private_segment_buffer 1
		.amdhsa_user_sgpr_dispatch_ptr 0
		.amdhsa_user_sgpr_queue_ptr 0
		.amdhsa_user_sgpr_kernarg_segment_ptr 1
		.amdhsa_user_sgpr_dispatch_id 0
		.amdhsa_user_sgpr_flat_scratch_init 0
		.amdhsa_user_sgpr_private_segment_size 0
		.amdhsa_wavefront_size32 1
		.amdhsa_uses_dynamic_stack 0
		.amdhsa_system_sgpr_private_segment_wavefront_offset 0
		.amdhsa_system_sgpr_workgroup_id_x 1
		.amdhsa_system_sgpr_workgroup_id_y 0
		.amdhsa_system_sgpr_workgroup_id_z 0
		.amdhsa_system_sgpr_workgroup_info 0
		.amdhsa_system_vgpr_workitem_id 0
		.amdhsa_next_free_vgpr 1
		.amdhsa_next_free_sgpr 1
		.amdhsa_reserve_vcc 0
		.amdhsa_reserve_flat_scratch 0
		.amdhsa_float_round_mode_32 0
		.amdhsa_float_round_mode_16_64 0
		.amdhsa_float_denorm_mode_32 3
		.amdhsa_float_denorm_mode_16_64 3
		.amdhsa_dx10_clamp 1
		.amdhsa_ieee_mode 1
		.amdhsa_fp16_overflow 0
		.amdhsa_workgroup_processor_mode 1
		.amdhsa_memory_ordered 1
		.amdhsa_forward_progress 1
		.amdhsa_shared_vgpr_count 0
		.amdhsa_exception_fp_ieee_invalid_op 0
		.amdhsa_exception_fp_denorm_src 0
		.amdhsa_exception_fp_ieee_div_zero 0
		.amdhsa_exception_fp_ieee_overflow 0
		.amdhsa_exception_fp_ieee_underflow 0
		.amdhsa_exception_fp_ieee_inexact 0
		.amdhsa_exception_int_div_zero 0
	.end_amdhsa_kernel
	.section	.text._ZN7rocprim17ROCPRIM_400000_NS6detail17trampoline_kernelINS0_14default_configENS1_29reduce_by_key_config_selectorIifN6thrust23THRUST_200600_302600_NS4plusIfEEEEZZNS1_33reduce_by_key_impl_wrapped_configILNS1_25lookback_scan_determinismE0ES3_S9_NS6_6detail15normal_iteratorINS6_10device_ptrIiEEEENSD_INSE_IfEEEESG_SI_PmS8_NS6_8equal_toIiEEEE10hipError_tPvRmT2_T3_mT4_T5_T6_T7_T8_P12ihipStream_tbENKUlT_T0_E_clISt17integral_constantIbLb0EES13_EEDaSY_SZ_EUlSY_E_NS1_11comp_targetILNS1_3genE3ELNS1_11target_archE908ELNS1_3gpuE7ELNS1_3repE0EEENS1_30default_config_static_selectorELNS0_4arch9wavefront6targetE0EEEvT1_,"axG",@progbits,_ZN7rocprim17ROCPRIM_400000_NS6detail17trampoline_kernelINS0_14default_configENS1_29reduce_by_key_config_selectorIifN6thrust23THRUST_200600_302600_NS4plusIfEEEEZZNS1_33reduce_by_key_impl_wrapped_configILNS1_25lookback_scan_determinismE0ES3_S9_NS6_6detail15normal_iteratorINS6_10device_ptrIiEEEENSD_INSE_IfEEEESG_SI_PmS8_NS6_8equal_toIiEEEE10hipError_tPvRmT2_T3_mT4_T5_T6_T7_T8_P12ihipStream_tbENKUlT_T0_E_clISt17integral_constantIbLb0EES13_EEDaSY_SZ_EUlSY_E_NS1_11comp_targetILNS1_3genE3ELNS1_11target_archE908ELNS1_3gpuE7ELNS1_3repE0EEENS1_30default_config_static_selectorELNS0_4arch9wavefront6targetE0EEEvT1_,comdat
.Lfunc_end69:
	.size	_ZN7rocprim17ROCPRIM_400000_NS6detail17trampoline_kernelINS0_14default_configENS1_29reduce_by_key_config_selectorIifN6thrust23THRUST_200600_302600_NS4plusIfEEEEZZNS1_33reduce_by_key_impl_wrapped_configILNS1_25lookback_scan_determinismE0ES3_S9_NS6_6detail15normal_iteratorINS6_10device_ptrIiEEEENSD_INSE_IfEEEESG_SI_PmS8_NS6_8equal_toIiEEEE10hipError_tPvRmT2_T3_mT4_T5_T6_T7_T8_P12ihipStream_tbENKUlT_T0_E_clISt17integral_constantIbLb0EES13_EEDaSY_SZ_EUlSY_E_NS1_11comp_targetILNS1_3genE3ELNS1_11target_archE908ELNS1_3gpuE7ELNS1_3repE0EEENS1_30default_config_static_selectorELNS0_4arch9wavefront6targetE0EEEvT1_, .Lfunc_end69-_ZN7rocprim17ROCPRIM_400000_NS6detail17trampoline_kernelINS0_14default_configENS1_29reduce_by_key_config_selectorIifN6thrust23THRUST_200600_302600_NS4plusIfEEEEZZNS1_33reduce_by_key_impl_wrapped_configILNS1_25lookback_scan_determinismE0ES3_S9_NS6_6detail15normal_iteratorINS6_10device_ptrIiEEEENSD_INSE_IfEEEESG_SI_PmS8_NS6_8equal_toIiEEEE10hipError_tPvRmT2_T3_mT4_T5_T6_T7_T8_P12ihipStream_tbENKUlT_T0_E_clISt17integral_constantIbLb0EES13_EEDaSY_SZ_EUlSY_E_NS1_11comp_targetILNS1_3genE3ELNS1_11target_archE908ELNS1_3gpuE7ELNS1_3repE0EEENS1_30default_config_static_selectorELNS0_4arch9wavefront6targetE0EEEvT1_
                                        ; -- End function
	.set _ZN7rocprim17ROCPRIM_400000_NS6detail17trampoline_kernelINS0_14default_configENS1_29reduce_by_key_config_selectorIifN6thrust23THRUST_200600_302600_NS4plusIfEEEEZZNS1_33reduce_by_key_impl_wrapped_configILNS1_25lookback_scan_determinismE0ES3_S9_NS6_6detail15normal_iteratorINS6_10device_ptrIiEEEENSD_INSE_IfEEEESG_SI_PmS8_NS6_8equal_toIiEEEE10hipError_tPvRmT2_T3_mT4_T5_T6_T7_T8_P12ihipStream_tbENKUlT_T0_E_clISt17integral_constantIbLb0EES13_EEDaSY_SZ_EUlSY_E_NS1_11comp_targetILNS1_3genE3ELNS1_11target_archE908ELNS1_3gpuE7ELNS1_3repE0EEENS1_30default_config_static_selectorELNS0_4arch9wavefront6targetE0EEEvT1_.num_vgpr, 0
	.set _ZN7rocprim17ROCPRIM_400000_NS6detail17trampoline_kernelINS0_14default_configENS1_29reduce_by_key_config_selectorIifN6thrust23THRUST_200600_302600_NS4plusIfEEEEZZNS1_33reduce_by_key_impl_wrapped_configILNS1_25lookback_scan_determinismE0ES3_S9_NS6_6detail15normal_iteratorINS6_10device_ptrIiEEEENSD_INSE_IfEEEESG_SI_PmS8_NS6_8equal_toIiEEEE10hipError_tPvRmT2_T3_mT4_T5_T6_T7_T8_P12ihipStream_tbENKUlT_T0_E_clISt17integral_constantIbLb0EES13_EEDaSY_SZ_EUlSY_E_NS1_11comp_targetILNS1_3genE3ELNS1_11target_archE908ELNS1_3gpuE7ELNS1_3repE0EEENS1_30default_config_static_selectorELNS0_4arch9wavefront6targetE0EEEvT1_.num_agpr, 0
	.set _ZN7rocprim17ROCPRIM_400000_NS6detail17trampoline_kernelINS0_14default_configENS1_29reduce_by_key_config_selectorIifN6thrust23THRUST_200600_302600_NS4plusIfEEEEZZNS1_33reduce_by_key_impl_wrapped_configILNS1_25lookback_scan_determinismE0ES3_S9_NS6_6detail15normal_iteratorINS6_10device_ptrIiEEEENSD_INSE_IfEEEESG_SI_PmS8_NS6_8equal_toIiEEEE10hipError_tPvRmT2_T3_mT4_T5_T6_T7_T8_P12ihipStream_tbENKUlT_T0_E_clISt17integral_constantIbLb0EES13_EEDaSY_SZ_EUlSY_E_NS1_11comp_targetILNS1_3genE3ELNS1_11target_archE908ELNS1_3gpuE7ELNS1_3repE0EEENS1_30default_config_static_selectorELNS0_4arch9wavefront6targetE0EEEvT1_.numbered_sgpr, 0
	.set _ZN7rocprim17ROCPRIM_400000_NS6detail17trampoline_kernelINS0_14default_configENS1_29reduce_by_key_config_selectorIifN6thrust23THRUST_200600_302600_NS4plusIfEEEEZZNS1_33reduce_by_key_impl_wrapped_configILNS1_25lookback_scan_determinismE0ES3_S9_NS6_6detail15normal_iteratorINS6_10device_ptrIiEEEENSD_INSE_IfEEEESG_SI_PmS8_NS6_8equal_toIiEEEE10hipError_tPvRmT2_T3_mT4_T5_T6_T7_T8_P12ihipStream_tbENKUlT_T0_E_clISt17integral_constantIbLb0EES13_EEDaSY_SZ_EUlSY_E_NS1_11comp_targetILNS1_3genE3ELNS1_11target_archE908ELNS1_3gpuE7ELNS1_3repE0EEENS1_30default_config_static_selectorELNS0_4arch9wavefront6targetE0EEEvT1_.num_named_barrier, 0
	.set _ZN7rocprim17ROCPRIM_400000_NS6detail17trampoline_kernelINS0_14default_configENS1_29reduce_by_key_config_selectorIifN6thrust23THRUST_200600_302600_NS4plusIfEEEEZZNS1_33reduce_by_key_impl_wrapped_configILNS1_25lookback_scan_determinismE0ES3_S9_NS6_6detail15normal_iteratorINS6_10device_ptrIiEEEENSD_INSE_IfEEEESG_SI_PmS8_NS6_8equal_toIiEEEE10hipError_tPvRmT2_T3_mT4_T5_T6_T7_T8_P12ihipStream_tbENKUlT_T0_E_clISt17integral_constantIbLb0EES13_EEDaSY_SZ_EUlSY_E_NS1_11comp_targetILNS1_3genE3ELNS1_11target_archE908ELNS1_3gpuE7ELNS1_3repE0EEENS1_30default_config_static_selectorELNS0_4arch9wavefront6targetE0EEEvT1_.private_seg_size, 0
	.set _ZN7rocprim17ROCPRIM_400000_NS6detail17trampoline_kernelINS0_14default_configENS1_29reduce_by_key_config_selectorIifN6thrust23THRUST_200600_302600_NS4plusIfEEEEZZNS1_33reduce_by_key_impl_wrapped_configILNS1_25lookback_scan_determinismE0ES3_S9_NS6_6detail15normal_iteratorINS6_10device_ptrIiEEEENSD_INSE_IfEEEESG_SI_PmS8_NS6_8equal_toIiEEEE10hipError_tPvRmT2_T3_mT4_T5_T6_T7_T8_P12ihipStream_tbENKUlT_T0_E_clISt17integral_constantIbLb0EES13_EEDaSY_SZ_EUlSY_E_NS1_11comp_targetILNS1_3genE3ELNS1_11target_archE908ELNS1_3gpuE7ELNS1_3repE0EEENS1_30default_config_static_selectorELNS0_4arch9wavefront6targetE0EEEvT1_.uses_vcc, 0
	.set _ZN7rocprim17ROCPRIM_400000_NS6detail17trampoline_kernelINS0_14default_configENS1_29reduce_by_key_config_selectorIifN6thrust23THRUST_200600_302600_NS4plusIfEEEEZZNS1_33reduce_by_key_impl_wrapped_configILNS1_25lookback_scan_determinismE0ES3_S9_NS6_6detail15normal_iteratorINS6_10device_ptrIiEEEENSD_INSE_IfEEEESG_SI_PmS8_NS6_8equal_toIiEEEE10hipError_tPvRmT2_T3_mT4_T5_T6_T7_T8_P12ihipStream_tbENKUlT_T0_E_clISt17integral_constantIbLb0EES13_EEDaSY_SZ_EUlSY_E_NS1_11comp_targetILNS1_3genE3ELNS1_11target_archE908ELNS1_3gpuE7ELNS1_3repE0EEENS1_30default_config_static_selectorELNS0_4arch9wavefront6targetE0EEEvT1_.uses_flat_scratch, 0
	.set _ZN7rocprim17ROCPRIM_400000_NS6detail17trampoline_kernelINS0_14default_configENS1_29reduce_by_key_config_selectorIifN6thrust23THRUST_200600_302600_NS4plusIfEEEEZZNS1_33reduce_by_key_impl_wrapped_configILNS1_25lookback_scan_determinismE0ES3_S9_NS6_6detail15normal_iteratorINS6_10device_ptrIiEEEENSD_INSE_IfEEEESG_SI_PmS8_NS6_8equal_toIiEEEE10hipError_tPvRmT2_T3_mT4_T5_T6_T7_T8_P12ihipStream_tbENKUlT_T0_E_clISt17integral_constantIbLb0EES13_EEDaSY_SZ_EUlSY_E_NS1_11comp_targetILNS1_3genE3ELNS1_11target_archE908ELNS1_3gpuE7ELNS1_3repE0EEENS1_30default_config_static_selectorELNS0_4arch9wavefront6targetE0EEEvT1_.has_dyn_sized_stack, 0
	.set _ZN7rocprim17ROCPRIM_400000_NS6detail17trampoline_kernelINS0_14default_configENS1_29reduce_by_key_config_selectorIifN6thrust23THRUST_200600_302600_NS4plusIfEEEEZZNS1_33reduce_by_key_impl_wrapped_configILNS1_25lookback_scan_determinismE0ES3_S9_NS6_6detail15normal_iteratorINS6_10device_ptrIiEEEENSD_INSE_IfEEEESG_SI_PmS8_NS6_8equal_toIiEEEE10hipError_tPvRmT2_T3_mT4_T5_T6_T7_T8_P12ihipStream_tbENKUlT_T0_E_clISt17integral_constantIbLb0EES13_EEDaSY_SZ_EUlSY_E_NS1_11comp_targetILNS1_3genE3ELNS1_11target_archE908ELNS1_3gpuE7ELNS1_3repE0EEENS1_30default_config_static_selectorELNS0_4arch9wavefront6targetE0EEEvT1_.has_recursion, 0
	.set _ZN7rocprim17ROCPRIM_400000_NS6detail17trampoline_kernelINS0_14default_configENS1_29reduce_by_key_config_selectorIifN6thrust23THRUST_200600_302600_NS4plusIfEEEEZZNS1_33reduce_by_key_impl_wrapped_configILNS1_25lookback_scan_determinismE0ES3_S9_NS6_6detail15normal_iteratorINS6_10device_ptrIiEEEENSD_INSE_IfEEEESG_SI_PmS8_NS6_8equal_toIiEEEE10hipError_tPvRmT2_T3_mT4_T5_T6_T7_T8_P12ihipStream_tbENKUlT_T0_E_clISt17integral_constantIbLb0EES13_EEDaSY_SZ_EUlSY_E_NS1_11comp_targetILNS1_3genE3ELNS1_11target_archE908ELNS1_3gpuE7ELNS1_3repE0EEENS1_30default_config_static_selectorELNS0_4arch9wavefront6targetE0EEEvT1_.has_indirect_call, 0
	.section	.AMDGPU.csdata,"",@progbits
; Kernel info:
; codeLenInByte = 0
; TotalNumSgprs: 0
; NumVgprs: 0
; ScratchSize: 0
; MemoryBound: 0
; FloatMode: 240
; IeeeMode: 1
; LDSByteSize: 0 bytes/workgroup (compile time only)
; SGPRBlocks: 0
; VGPRBlocks: 0
; NumSGPRsForWavesPerEU: 1
; NumVGPRsForWavesPerEU: 1
; Occupancy: 16
; WaveLimiterHint : 0
; COMPUTE_PGM_RSRC2:SCRATCH_EN: 0
; COMPUTE_PGM_RSRC2:USER_SGPR: 6
; COMPUTE_PGM_RSRC2:TRAP_HANDLER: 0
; COMPUTE_PGM_RSRC2:TGID_X_EN: 1
; COMPUTE_PGM_RSRC2:TGID_Y_EN: 0
; COMPUTE_PGM_RSRC2:TGID_Z_EN: 0
; COMPUTE_PGM_RSRC2:TIDIG_COMP_CNT: 0
	.section	.text._ZN7rocprim17ROCPRIM_400000_NS6detail17trampoline_kernelINS0_14default_configENS1_29reduce_by_key_config_selectorIifN6thrust23THRUST_200600_302600_NS4plusIfEEEEZZNS1_33reduce_by_key_impl_wrapped_configILNS1_25lookback_scan_determinismE0ES3_S9_NS6_6detail15normal_iteratorINS6_10device_ptrIiEEEENSD_INSE_IfEEEESG_SI_PmS8_NS6_8equal_toIiEEEE10hipError_tPvRmT2_T3_mT4_T5_T6_T7_T8_P12ihipStream_tbENKUlT_T0_E_clISt17integral_constantIbLb0EES13_EEDaSY_SZ_EUlSY_E_NS1_11comp_targetILNS1_3genE2ELNS1_11target_archE906ELNS1_3gpuE6ELNS1_3repE0EEENS1_30default_config_static_selectorELNS0_4arch9wavefront6targetE0EEEvT1_,"axG",@progbits,_ZN7rocprim17ROCPRIM_400000_NS6detail17trampoline_kernelINS0_14default_configENS1_29reduce_by_key_config_selectorIifN6thrust23THRUST_200600_302600_NS4plusIfEEEEZZNS1_33reduce_by_key_impl_wrapped_configILNS1_25lookback_scan_determinismE0ES3_S9_NS6_6detail15normal_iteratorINS6_10device_ptrIiEEEENSD_INSE_IfEEEESG_SI_PmS8_NS6_8equal_toIiEEEE10hipError_tPvRmT2_T3_mT4_T5_T6_T7_T8_P12ihipStream_tbENKUlT_T0_E_clISt17integral_constantIbLb0EES13_EEDaSY_SZ_EUlSY_E_NS1_11comp_targetILNS1_3genE2ELNS1_11target_archE906ELNS1_3gpuE6ELNS1_3repE0EEENS1_30default_config_static_selectorELNS0_4arch9wavefront6targetE0EEEvT1_,comdat
	.protected	_ZN7rocprim17ROCPRIM_400000_NS6detail17trampoline_kernelINS0_14default_configENS1_29reduce_by_key_config_selectorIifN6thrust23THRUST_200600_302600_NS4plusIfEEEEZZNS1_33reduce_by_key_impl_wrapped_configILNS1_25lookback_scan_determinismE0ES3_S9_NS6_6detail15normal_iteratorINS6_10device_ptrIiEEEENSD_INSE_IfEEEESG_SI_PmS8_NS6_8equal_toIiEEEE10hipError_tPvRmT2_T3_mT4_T5_T6_T7_T8_P12ihipStream_tbENKUlT_T0_E_clISt17integral_constantIbLb0EES13_EEDaSY_SZ_EUlSY_E_NS1_11comp_targetILNS1_3genE2ELNS1_11target_archE906ELNS1_3gpuE6ELNS1_3repE0EEENS1_30default_config_static_selectorELNS0_4arch9wavefront6targetE0EEEvT1_ ; -- Begin function _ZN7rocprim17ROCPRIM_400000_NS6detail17trampoline_kernelINS0_14default_configENS1_29reduce_by_key_config_selectorIifN6thrust23THRUST_200600_302600_NS4plusIfEEEEZZNS1_33reduce_by_key_impl_wrapped_configILNS1_25lookback_scan_determinismE0ES3_S9_NS6_6detail15normal_iteratorINS6_10device_ptrIiEEEENSD_INSE_IfEEEESG_SI_PmS8_NS6_8equal_toIiEEEE10hipError_tPvRmT2_T3_mT4_T5_T6_T7_T8_P12ihipStream_tbENKUlT_T0_E_clISt17integral_constantIbLb0EES13_EEDaSY_SZ_EUlSY_E_NS1_11comp_targetILNS1_3genE2ELNS1_11target_archE906ELNS1_3gpuE6ELNS1_3repE0EEENS1_30default_config_static_selectorELNS0_4arch9wavefront6targetE0EEEvT1_
	.globl	_ZN7rocprim17ROCPRIM_400000_NS6detail17trampoline_kernelINS0_14default_configENS1_29reduce_by_key_config_selectorIifN6thrust23THRUST_200600_302600_NS4plusIfEEEEZZNS1_33reduce_by_key_impl_wrapped_configILNS1_25lookback_scan_determinismE0ES3_S9_NS6_6detail15normal_iteratorINS6_10device_ptrIiEEEENSD_INSE_IfEEEESG_SI_PmS8_NS6_8equal_toIiEEEE10hipError_tPvRmT2_T3_mT4_T5_T6_T7_T8_P12ihipStream_tbENKUlT_T0_E_clISt17integral_constantIbLb0EES13_EEDaSY_SZ_EUlSY_E_NS1_11comp_targetILNS1_3genE2ELNS1_11target_archE906ELNS1_3gpuE6ELNS1_3repE0EEENS1_30default_config_static_selectorELNS0_4arch9wavefront6targetE0EEEvT1_
	.p2align	8
	.type	_ZN7rocprim17ROCPRIM_400000_NS6detail17trampoline_kernelINS0_14default_configENS1_29reduce_by_key_config_selectorIifN6thrust23THRUST_200600_302600_NS4plusIfEEEEZZNS1_33reduce_by_key_impl_wrapped_configILNS1_25lookback_scan_determinismE0ES3_S9_NS6_6detail15normal_iteratorINS6_10device_ptrIiEEEENSD_INSE_IfEEEESG_SI_PmS8_NS6_8equal_toIiEEEE10hipError_tPvRmT2_T3_mT4_T5_T6_T7_T8_P12ihipStream_tbENKUlT_T0_E_clISt17integral_constantIbLb0EES13_EEDaSY_SZ_EUlSY_E_NS1_11comp_targetILNS1_3genE2ELNS1_11target_archE906ELNS1_3gpuE6ELNS1_3repE0EEENS1_30default_config_static_selectorELNS0_4arch9wavefront6targetE0EEEvT1_,@function
_ZN7rocprim17ROCPRIM_400000_NS6detail17trampoline_kernelINS0_14default_configENS1_29reduce_by_key_config_selectorIifN6thrust23THRUST_200600_302600_NS4plusIfEEEEZZNS1_33reduce_by_key_impl_wrapped_configILNS1_25lookback_scan_determinismE0ES3_S9_NS6_6detail15normal_iteratorINS6_10device_ptrIiEEEENSD_INSE_IfEEEESG_SI_PmS8_NS6_8equal_toIiEEEE10hipError_tPvRmT2_T3_mT4_T5_T6_T7_T8_P12ihipStream_tbENKUlT_T0_E_clISt17integral_constantIbLb0EES13_EEDaSY_SZ_EUlSY_E_NS1_11comp_targetILNS1_3genE2ELNS1_11target_archE906ELNS1_3gpuE6ELNS1_3repE0EEENS1_30default_config_static_selectorELNS0_4arch9wavefront6targetE0EEEvT1_: ; @_ZN7rocprim17ROCPRIM_400000_NS6detail17trampoline_kernelINS0_14default_configENS1_29reduce_by_key_config_selectorIifN6thrust23THRUST_200600_302600_NS4plusIfEEEEZZNS1_33reduce_by_key_impl_wrapped_configILNS1_25lookback_scan_determinismE0ES3_S9_NS6_6detail15normal_iteratorINS6_10device_ptrIiEEEENSD_INSE_IfEEEESG_SI_PmS8_NS6_8equal_toIiEEEE10hipError_tPvRmT2_T3_mT4_T5_T6_T7_T8_P12ihipStream_tbENKUlT_T0_E_clISt17integral_constantIbLb0EES13_EEDaSY_SZ_EUlSY_E_NS1_11comp_targetILNS1_3genE2ELNS1_11target_archE906ELNS1_3gpuE6ELNS1_3repE0EEENS1_30default_config_static_selectorELNS0_4arch9wavefront6targetE0EEEvT1_
; %bb.0:
	.section	.rodata,"a",@progbits
	.p2align	6, 0x0
	.amdhsa_kernel _ZN7rocprim17ROCPRIM_400000_NS6detail17trampoline_kernelINS0_14default_configENS1_29reduce_by_key_config_selectorIifN6thrust23THRUST_200600_302600_NS4plusIfEEEEZZNS1_33reduce_by_key_impl_wrapped_configILNS1_25lookback_scan_determinismE0ES3_S9_NS6_6detail15normal_iteratorINS6_10device_ptrIiEEEENSD_INSE_IfEEEESG_SI_PmS8_NS6_8equal_toIiEEEE10hipError_tPvRmT2_T3_mT4_T5_T6_T7_T8_P12ihipStream_tbENKUlT_T0_E_clISt17integral_constantIbLb0EES13_EEDaSY_SZ_EUlSY_E_NS1_11comp_targetILNS1_3genE2ELNS1_11target_archE906ELNS1_3gpuE6ELNS1_3repE0EEENS1_30default_config_static_selectorELNS0_4arch9wavefront6targetE0EEEvT1_
		.amdhsa_group_segment_fixed_size 0
		.amdhsa_private_segment_fixed_size 0
		.amdhsa_kernarg_size 120
		.amdhsa_user_sgpr_count 6
		.amdhsa_user_sgpr_private_segment_buffer 1
		.amdhsa_user_sgpr_dispatch_ptr 0
		.amdhsa_user_sgpr_queue_ptr 0
		.amdhsa_user_sgpr_kernarg_segment_ptr 1
		.amdhsa_user_sgpr_dispatch_id 0
		.amdhsa_user_sgpr_flat_scratch_init 0
		.amdhsa_user_sgpr_private_segment_size 0
		.amdhsa_wavefront_size32 1
		.amdhsa_uses_dynamic_stack 0
		.amdhsa_system_sgpr_private_segment_wavefront_offset 0
		.amdhsa_system_sgpr_workgroup_id_x 1
		.amdhsa_system_sgpr_workgroup_id_y 0
		.amdhsa_system_sgpr_workgroup_id_z 0
		.amdhsa_system_sgpr_workgroup_info 0
		.amdhsa_system_vgpr_workitem_id 0
		.amdhsa_next_free_vgpr 1
		.amdhsa_next_free_sgpr 1
		.amdhsa_reserve_vcc 0
		.amdhsa_reserve_flat_scratch 0
		.amdhsa_float_round_mode_32 0
		.amdhsa_float_round_mode_16_64 0
		.amdhsa_float_denorm_mode_32 3
		.amdhsa_float_denorm_mode_16_64 3
		.amdhsa_dx10_clamp 1
		.amdhsa_ieee_mode 1
		.amdhsa_fp16_overflow 0
		.amdhsa_workgroup_processor_mode 1
		.amdhsa_memory_ordered 1
		.amdhsa_forward_progress 1
		.amdhsa_shared_vgpr_count 0
		.amdhsa_exception_fp_ieee_invalid_op 0
		.amdhsa_exception_fp_denorm_src 0
		.amdhsa_exception_fp_ieee_div_zero 0
		.amdhsa_exception_fp_ieee_overflow 0
		.amdhsa_exception_fp_ieee_underflow 0
		.amdhsa_exception_fp_ieee_inexact 0
		.amdhsa_exception_int_div_zero 0
	.end_amdhsa_kernel
	.section	.text._ZN7rocprim17ROCPRIM_400000_NS6detail17trampoline_kernelINS0_14default_configENS1_29reduce_by_key_config_selectorIifN6thrust23THRUST_200600_302600_NS4plusIfEEEEZZNS1_33reduce_by_key_impl_wrapped_configILNS1_25lookback_scan_determinismE0ES3_S9_NS6_6detail15normal_iteratorINS6_10device_ptrIiEEEENSD_INSE_IfEEEESG_SI_PmS8_NS6_8equal_toIiEEEE10hipError_tPvRmT2_T3_mT4_T5_T6_T7_T8_P12ihipStream_tbENKUlT_T0_E_clISt17integral_constantIbLb0EES13_EEDaSY_SZ_EUlSY_E_NS1_11comp_targetILNS1_3genE2ELNS1_11target_archE906ELNS1_3gpuE6ELNS1_3repE0EEENS1_30default_config_static_selectorELNS0_4arch9wavefront6targetE0EEEvT1_,"axG",@progbits,_ZN7rocprim17ROCPRIM_400000_NS6detail17trampoline_kernelINS0_14default_configENS1_29reduce_by_key_config_selectorIifN6thrust23THRUST_200600_302600_NS4plusIfEEEEZZNS1_33reduce_by_key_impl_wrapped_configILNS1_25lookback_scan_determinismE0ES3_S9_NS6_6detail15normal_iteratorINS6_10device_ptrIiEEEENSD_INSE_IfEEEESG_SI_PmS8_NS6_8equal_toIiEEEE10hipError_tPvRmT2_T3_mT4_T5_T6_T7_T8_P12ihipStream_tbENKUlT_T0_E_clISt17integral_constantIbLb0EES13_EEDaSY_SZ_EUlSY_E_NS1_11comp_targetILNS1_3genE2ELNS1_11target_archE906ELNS1_3gpuE6ELNS1_3repE0EEENS1_30default_config_static_selectorELNS0_4arch9wavefront6targetE0EEEvT1_,comdat
.Lfunc_end70:
	.size	_ZN7rocprim17ROCPRIM_400000_NS6detail17trampoline_kernelINS0_14default_configENS1_29reduce_by_key_config_selectorIifN6thrust23THRUST_200600_302600_NS4plusIfEEEEZZNS1_33reduce_by_key_impl_wrapped_configILNS1_25lookback_scan_determinismE0ES3_S9_NS6_6detail15normal_iteratorINS6_10device_ptrIiEEEENSD_INSE_IfEEEESG_SI_PmS8_NS6_8equal_toIiEEEE10hipError_tPvRmT2_T3_mT4_T5_T6_T7_T8_P12ihipStream_tbENKUlT_T0_E_clISt17integral_constantIbLb0EES13_EEDaSY_SZ_EUlSY_E_NS1_11comp_targetILNS1_3genE2ELNS1_11target_archE906ELNS1_3gpuE6ELNS1_3repE0EEENS1_30default_config_static_selectorELNS0_4arch9wavefront6targetE0EEEvT1_, .Lfunc_end70-_ZN7rocprim17ROCPRIM_400000_NS6detail17trampoline_kernelINS0_14default_configENS1_29reduce_by_key_config_selectorIifN6thrust23THRUST_200600_302600_NS4plusIfEEEEZZNS1_33reduce_by_key_impl_wrapped_configILNS1_25lookback_scan_determinismE0ES3_S9_NS6_6detail15normal_iteratorINS6_10device_ptrIiEEEENSD_INSE_IfEEEESG_SI_PmS8_NS6_8equal_toIiEEEE10hipError_tPvRmT2_T3_mT4_T5_T6_T7_T8_P12ihipStream_tbENKUlT_T0_E_clISt17integral_constantIbLb0EES13_EEDaSY_SZ_EUlSY_E_NS1_11comp_targetILNS1_3genE2ELNS1_11target_archE906ELNS1_3gpuE6ELNS1_3repE0EEENS1_30default_config_static_selectorELNS0_4arch9wavefront6targetE0EEEvT1_
                                        ; -- End function
	.set _ZN7rocprim17ROCPRIM_400000_NS6detail17trampoline_kernelINS0_14default_configENS1_29reduce_by_key_config_selectorIifN6thrust23THRUST_200600_302600_NS4plusIfEEEEZZNS1_33reduce_by_key_impl_wrapped_configILNS1_25lookback_scan_determinismE0ES3_S9_NS6_6detail15normal_iteratorINS6_10device_ptrIiEEEENSD_INSE_IfEEEESG_SI_PmS8_NS6_8equal_toIiEEEE10hipError_tPvRmT2_T3_mT4_T5_T6_T7_T8_P12ihipStream_tbENKUlT_T0_E_clISt17integral_constantIbLb0EES13_EEDaSY_SZ_EUlSY_E_NS1_11comp_targetILNS1_3genE2ELNS1_11target_archE906ELNS1_3gpuE6ELNS1_3repE0EEENS1_30default_config_static_selectorELNS0_4arch9wavefront6targetE0EEEvT1_.num_vgpr, 0
	.set _ZN7rocprim17ROCPRIM_400000_NS6detail17trampoline_kernelINS0_14default_configENS1_29reduce_by_key_config_selectorIifN6thrust23THRUST_200600_302600_NS4plusIfEEEEZZNS1_33reduce_by_key_impl_wrapped_configILNS1_25lookback_scan_determinismE0ES3_S9_NS6_6detail15normal_iteratorINS6_10device_ptrIiEEEENSD_INSE_IfEEEESG_SI_PmS8_NS6_8equal_toIiEEEE10hipError_tPvRmT2_T3_mT4_T5_T6_T7_T8_P12ihipStream_tbENKUlT_T0_E_clISt17integral_constantIbLb0EES13_EEDaSY_SZ_EUlSY_E_NS1_11comp_targetILNS1_3genE2ELNS1_11target_archE906ELNS1_3gpuE6ELNS1_3repE0EEENS1_30default_config_static_selectorELNS0_4arch9wavefront6targetE0EEEvT1_.num_agpr, 0
	.set _ZN7rocprim17ROCPRIM_400000_NS6detail17trampoline_kernelINS0_14default_configENS1_29reduce_by_key_config_selectorIifN6thrust23THRUST_200600_302600_NS4plusIfEEEEZZNS1_33reduce_by_key_impl_wrapped_configILNS1_25lookback_scan_determinismE0ES3_S9_NS6_6detail15normal_iteratorINS6_10device_ptrIiEEEENSD_INSE_IfEEEESG_SI_PmS8_NS6_8equal_toIiEEEE10hipError_tPvRmT2_T3_mT4_T5_T6_T7_T8_P12ihipStream_tbENKUlT_T0_E_clISt17integral_constantIbLb0EES13_EEDaSY_SZ_EUlSY_E_NS1_11comp_targetILNS1_3genE2ELNS1_11target_archE906ELNS1_3gpuE6ELNS1_3repE0EEENS1_30default_config_static_selectorELNS0_4arch9wavefront6targetE0EEEvT1_.numbered_sgpr, 0
	.set _ZN7rocprim17ROCPRIM_400000_NS6detail17trampoline_kernelINS0_14default_configENS1_29reduce_by_key_config_selectorIifN6thrust23THRUST_200600_302600_NS4plusIfEEEEZZNS1_33reduce_by_key_impl_wrapped_configILNS1_25lookback_scan_determinismE0ES3_S9_NS6_6detail15normal_iteratorINS6_10device_ptrIiEEEENSD_INSE_IfEEEESG_SI_PmS8_NS6_8equal_toIiEEEE10hipError_tPvRmT2_T3_mT4_T5_T6_T7_T8_P12ihipStream_tbENKUlT_T0_E_clISt17integral_constantIbLb0EES13_EEDaSY_SZ_EUlSY_E_NS1_11comp_targetILNS1_3genE2ELNS1_11target_archE906ELNS1_3gpuE6ELNS1_3repE0EEENS1_30default_config_static_selectorELNS0_4arch9wavefront6targetE0EEEvT1_.num_named_barrier, 0
	.set _ZN7rocprim17ROCPRIM_400000_NS6detail17trampoline_kernelINS0_14default_configENS1_29reduce_by_key_config_selectorIifN6thrust23THRUST_200600_302600_NS4plusIfEEEEZZNS1_33reduce_by_key_impl_wrapped_configILNS1_25lookback_scan_determinismE0ES3_S9_NS6_6detail15normal_iteratorINS6_10device_ptrIiEEEENSD_INSE_IfEEEESG_SI_PmS8_NS6_8equal_toIiEEEE10hipError_tPvRmT2_T3_mT4_T5_T6_T7_T8_P12ihipStream_tbENKUlT_T0_E_clISt17integral_constantIbLb0EES13_EEDaSY_SZ_EUlSY_E_NS1_11comp_targetILNS1_3genE2ELNS1_11target_archE906ELNS1_3gpuE6ELNS1_3repE0EEENS1_30default_config_static_selectorELNS0_4arch9wavefront6targetE0EEEvT1_.private_seg_size, 0
	.set _ZN7rocprim17ROCPRIM_400000_NS6detail17trampoline_kernelINS0_14default_configENS1_29reduce_by_key_config_selectorIifN6thrust23THRUST_200600_302600_NS4plusIfEEEEZZNS1_33reduce_by_key_impl_wrapped_configILNS1_25lookback_scan_determinismE0ES3_S9_NS6_6detail15normal_iteratorINS6_10device_ptrIiEEEENSD_INSE_IfEEEESG_SI_PmS8_NS6_8equal_toIiEEEE10hipError_tPvRmT2_T3_mT4_T5_T6_T7_T8_P12ihipStream_tbENKUlT_T0_E_clISt17integral_constantIbLb0EES13_EEDaSY_SZ_EUlSY_E_NS1_11comp_targetILNS1_3genE2ELNS1_11target_archE906ELNS1_3gpuE6ELNS1_3repE0EEENS1_30default_config_static_selectorELNS0_4arch9wavefront6targetE0EEEvT1_.uses_vcc, 0
	.set _ZN7rocprim17ROCPRIM_400000_NS6detail17trampoline_kernelINS0_14default_configENS1_29reduce_by_key_config_selectorIifN6thrust23THRUST_200600_302600_NS4plusIfEEEEZZNS1_33reduce_by_key_impl_wrapped_configILNS1_25lookback_scan_determinismE0ES3_S9_NS6_6detail15normal_iteratorINS6_10device_ptrIiEEEENSD_INSE_IfEEEESG_SI_PmS8_NS6_8equal_toIiEEEE10hipError_tPvRmT2_T3_mT4_T5_T6_T7_T8_P12ihipStream_tbENKUlT_T0_E_clISt17integral_constantIbLb0EES13_EEDaSY_SZ_EUlSY_E_NS1_11comp_targetILNS1_3genE2ELNS1_11target_archE906ELNS1_3gpuE6ELNS1_3repE0EEENS1_30default_config_static_selectorELNS0_4arch9wavefront6targetE0EEEvT1_.uses_flat_scratch, 0
	.set _ZN7rocprim17ROCPRIM_400000_NS6detail17trampoline_kernelINS0_14default_configENS1_29reduce_by_key_config_selectorIifN6thrust23THRUST_200600_302600_NS4plusIfEEEEZZNS1_33reduce_by_key_impl_wrapped_configILNS1_25lookback_scan_determinismE0ES3_S9_NS6_6detail15normal_iteratorINS6_10device_ptrIiEEEENSD_INSE_IfEEEESG_SI_PmS8_NS6_8equal_toIiEEEE10hipError_tPvRmT2_T3_mT4_T5_T6_T7_T8_P12ihipStream_tbENKUlT_T0_E_clISt17integral_constantIbLb0EES13_EEDaSY_SZ_EUlSY_E_NS1_11comp_targetILNS1_3genE2ELNS1_11target_archE906ELNS1_3gpuE6ELNS1_3repE0EEENS1_30default_config_static_selectorELNS0_4arch9wavefront6targetE0EEEvT1_.has_dyn_sized_stack, 0
	.set _ZN7rocprim17ROCPRIM_400000_NS6detail17trampoline_kernelINS0_14default_configENS1_29reduce_by_key_config_selectorIifN6thrust23THRUST_200600_302600_NS4plusIfEEEEZZNS1_33reduce_by_key_impl_wrapped_configILNS1_25lookback_scan_determinismE0ES3_S9_NS6_6detail15normal_iteratorINS6_10device_ptrIiEEEENSD_INSE_IfEEEESG_SI_PmS8_NS6_8equal_toIiEEEE10hipError_tPvRmT2_T3_mT4_T5_T6_T7_T8_P12ihipStream_tbENKUlT_T0_E_clISt17integral_constantIbLb0EES13_EEDaSY_SZ_EUlSY_E_NS1_11comp_targetILNS1_3genE2ELNS1_11target_archE906ELNS1_3gpuE6ELNS1_3repE0EEENS1_30default_config_static_selectorELNS0_4arch9wavefront6targetE0EEEvT1_.has_recursion, 0
	.set _ZN7rocprim17ROCPRIM_400000_NS6detail17trampoline_kernelINS0_14default_configENS1_29reduce_by_key_config_selectorIifN6thrust23THRUST_200600_302600_NS4plusIfEEEEZZNS1_33reduce_by_key_impl_wrapped_configILNS1_25lookback_scan_determinismE0ES3_S9_NS6_6detail15normal_iteratorINS6_10device_ptrIiEEEENSD_INSE_IfEEEESG_SI_PmS8_NS6_8equal_toIiEEEE10hipError_tPvRmT2_T3_mT4_T5_T6_T7_T8_P12ihipStream_tbENKUlT_T0_E_clISt17integral_constantIbLb0EES13_EEDaSY_SZ_EUlSY_E_NS1_11comp_targetILNS1_3genE2ELNS1_11target_archE906ELNS1_3gpuE6ELNS1_3repE0EEENS1_30default_config_static_selectorELNS0_4arch9wavefront6targetE0EEEvT1_.has_indirect_call, 0
	.section	.AMDGPU.csdata,"",@progbits
; Kernel info:
; codeLenInByte = 0
; TotalNumSgprs: 0
; NumVgprs: 0
; ScratchSize: 0
; MemoryBound: 0
; FloatMode: 240
; IeeeMode: 1
; LDSByteSize: 0 bytes/workgroup (compile time only)
; SGPRBlocks: 0
; VGPRBlocks: 0
; NumSGPRsForWavesPerEU: 1
; NumVGPRsForWavesPerEU: 1
; Occupancy: 16
; WaveLimiterHint : 0
; COMPUTE_PGM_RSRC2:SCRATCH_EN: 0
; COMPUTE_PGM_RSRC2:USER_SGPR: 6
; COMPUTE_PGM_RSRC2:TRAP_HANDLER: 0
; COMPUTE_PGM_RSRC2:TGID_X_EN: 1
; COMPUTE_PGM_RSRC2:TGID_Y_EN: 0
; COMPUTE_PGM_RSRC2:TGID_Z_EN: 0
; COMPUTE_PGM_RSRC2:TIDIG_COMP_CNT: 0
	.section	.text._ZN7rocprim17ROCPRIM_400000_NS6detail17trampoline_kernelINS0_14default_configENS1_29reduce_by_key_config_selectorIifN6thrust23THRUST_200600_302600_NS4plusIfEEEEZZNS1_33reduce_by_key_impl_wrapped_configILNS1_25lookback_scan_determinismE0ES3_S9_NS6_6detail15normal_iteratorINS6_10device_ptrIiEEEENSD_INSE_IfEEEESG_SI_PmS8_NS6_8equal_toIiEEEE10hipError_tPvRmT2_T3_mT4_T5_T6_T7_T8_P12ihipStream_tbENKUlT_T0_E_clISt17integral_constantIbLb0EES13_EEDaSY_SZ_EUlSY_E_NS1_11comp_targetILNS1_3genE10ELNS1_11target_archE1201ELNS1_3gpuE5ELNS1_3repE0EEENS1_30default_config_static_selectorELNS0_4arch9wavefront6targetE0EEEvT1_,"axG",@progbits,_ZN7rocprim17ROCPRIM_400000_NS6detail17trampoline_kernelINS0_14default_configENS1_29reduce_by_key_config_selectorIifN6thrust23THRUST_200600_302600_NS4plusIfEEEEZZNS1_33reduce_by_key_impl_wrapped_configILNS1_25lookback_scan_determinismE0ES3_S9_NS6_6detail15normal_iteratorINS6_10device_ptrIiEEEENSD_INSE_IfEEEESG_SI_PmS8_NS6_8equal_toIiEEEE10hipError_tPvRmT2_T3_mT4_T5_T6_T7_T8_P12ihipStream_tbENKUlT_T0_E_clISt17integral_constantIbLb0EES13_EEDaSY_SZ_EUlSY_E_NS1_11comp_targetILNS1_3genE10ELNS1_11target_archE1201ELNS1_3gpuE5ELNS1_3repE0EEENS1_30default_config_static_selectorELNS0_4arch9wavefront6targetE0EEEvT1_,comdat
	.protected	_ZN7rocprim17ROCPRIM_400000_NS6detail17trampoline_kernelINS0_14default_configENS1_29reduce_by_key_config_selectorIifN6thrust23THRUST_200600_302600_NS4plusIfEEEEZZNS1_33reduce_by_key_impl_wrapped_configILNS1_25lookback_scan_determinismE0ES3_S9_NS6_6detail15normal_iteratorINS6_10device_ptrIiEEEENSD_INSE_IfEEEESG_SI_PmS8_NS6_8equal_toIiEEEE10hipError_tPvRmT2_T3_mT4_T5_T6_T7_T8_P12ihipStream_tbENKUlT_T0_E_clISt17integral_constantIbLb0EES13_EEDaSY_SZ_EUlSY_E_NS1_11comp_targetILNS1_3genE10ELNS1_11target_archE1201ELNS1_3gpuE5ELNS1_3repE0EEENS1_30default_config_static_selectorELNS0_4arch9wavefront6targetE0EEEvT1_ ; -- Begin function _ZN7rocprim17ROCPRIM_400000_NS6detail17trampoline_kernelINS0_14default_configENS1_29reduce_by_key_config_selectorIifN6thrust23THRUST_200600_302600_NS4plusIfEEEEZZNS1_33reduce_by_key_impl_wrapped_configILNS1_25lookback_scan_determinismE0ES3_S9_NS6_6detail15normal_iteratorINS6_10device_ptrIiEEEENSD_INSE_IfEEEESG_SI_PmS8_NS6_8equal_toIiEEEE10hipError_tPvRmT2_T3_mT4_T5_T6_T7_T8_P12ihipStream_tbENKUlT_T0_E_clISt17integral_constantIbLb0EES13_EEDaSY_SZ_EUlSY_E_NS1_11comp_targetILNS1_3genE10ELNS1_11target_archE1201ELNS1_3gpuE5ELNS1_3repE0EEENS1_30default_config_static_selectorELNS0_4arch9wavefront6targetE0EEEvT1_
	.globl	_ZN7rocprim17ROCPRIM_400000_NS6detail17trampoline_kernelINS0_14default_configENS1_29reduce_by_key_config_selectorIifN6thrust23THRUST_200600_302600_NS4plusIfEEEEZZNS1_33reduce_by_key_impl_wrapped_configILNS1_25lookback_scan_determinismE0ES3_S9_NS6_6detail15normal_iteratorINS6_10device_ptrIiEEEENSD_INSE_IfEEEESG_SI_PmS8_NS6_8equal_toIiEEEE10hipError_tPvRmT2_T3_mT4_T5_T6_T7_T8_P12ihipStream_tbENKUlT_T0_E_clISt17integral_constantIbLb0EES13_EEDaSY_SZ_EUlSY_E_NS1_11comp_targetILNS1_3genE10ELNS1_11target_archE1201ELNS1_3gpuE5ELNS1_3repE0EEENS1_30default_config_static_selectorELNS0_4arch9wavefront6targetE0EEEvT1_
	.p2align	8
	.type	_ZN7rocprim17ROCPRIM_400000_NS6detail17trampoline_kernelINS0_14default_configENS1_29reduce_by_key_config_selectorIifN6thrust23THRUST_200600_302600_NS4plusIfEEEEZZNS1_33reduce_by_key_impl_wrapped_configILNS1_25lookback_scan_determinismE0ES3_S9_NS6_6detail15normal_iteratorINS6_10device_ptrIiEEEENSD_INSE_IfEEEESG_SI_PmS8_NS6_8equal_toIiEEEE10hipError_tPvRmT2_T3_mT4_T5_T6_T7_T8_P12ihipStream_tbENKUlT_T0_E_clISt17integral_constantIbLb0EES13_EEDaSY_SZ_EUlSY_E_NS1_11comp_targetILNS1_3genE10ELNS1_11target_archE1201ELNS1_3gpuE5ELNS1_3repE0EEENS1_30default_config_static_selectorELNS0_4arch9wavefront6targetE0EEEvT1_,@function
_ZN7rocprim17ROCPRIM_400000_NS6detail17trampoline_kernelINS0_14default_configENS1_29reduce_by_key_config_selectorIifN6thrust23THRUST_200600_302600_NS4plusIfEEEEZZNS1_33reduce_by_key_impl_wrapped_configILNS1_25lookback_scan_determinismE0ES3_S9_NS6_6detail15normal_iteratorINS6_10device_ptrIiEEEENSD_INSE_IfEEEESG_SI_PmS8_NS6_8equal_toIiEEEE10hipError_tPvRmT2_T3_mT4_T5_T6_T7_T8_P12ihipStream_tbENKUlT_T0_E_clISt17integral_constantIbLb0EES13_EEDaSY_SZ_EUlSY_E_NS1_11comp_targetILNS1_3genE10ELNS1_11target_archE1201ELNS1_3gpuE5ELNS1_3repE0EEENS1_30default_config_static_selectorELNS0_4arch9wavefront6targetE0EEEvT1_: ; @_ZN7rocprim17ROCPRIM_400000_NS6detail17trampoline_kernelINS0_14default_configENS1_29reduce_by_key_config_selectorIifN6thrust23THRUST_200600_302600_NS4plusIfEEEEZZNS1_33reduce_by_key_impl_wrapped_configILNS1_25lookback_scan_determinismE0ES3_S9_NS6_6detail15normal_iteratorINS6_10device_ptrIiEEEENSD_INSE_IfEEEESG_SI_PmS8_NS6_8equal_toIiEEEE10hipError_tPvRmT2_T3_mT4_T5_T6_T7_T8_P12ihipStream_tbENKUlT_T0_E_clISt17integral_constantIbLb0EES13_EEDaSY_SZ_EUlSY_E_NS1_11comp_targetILNS1_3genE10ELNS1_11target_archE1201ELNS1_3gpuE5ELNS1_3repE0EEENS1_30default_config_static_selectorELNS0_4arch9wavefront6targetE0EEEvT1_
; %bb.0:
	.section	.rodata,"a",@progbits
	.p2align	6, 0x0
	.amdhsa_kernel _ZN7rocprim17ROCPRIM_400000_NS6detail17trampoline_kernelINS0_14default_configENS1_29reduce_by_key_config_selectorIifN6thrust23THRUST_200600_302600_NS4plusIfEEEEZZNS1_33reduce_by_key_impl_wrapped_configILNS1_25lookback_scan_determinismE0ES3_S9_NS6_6detail15normal_iteratorINS6_10device_ptrIiEEEENSD_INSE_IfEEEESG_SI_PmS8_NS6_8equal_toIiEEEE10hipError_tPvRmT2_T3_mT4_T5_T6_T7_T8_P12ihipStream_tbENKUlT_T0_E_clISt17integral_constantIbLb0EES13_EEDaSY_SZ_EUlSY_E_NS1_11comp_targetILNS1_3genE10ELNS1_11target_archE1201ELNS1_3gpuE5ELNS1_3repE0EEENS1_30default_config_static_selectorELNS0_4arch9wavefront6targetE0EEEvT1_
		.amdhsa_group_segment_fixed_size 0
		.amdhsa_private_segment_fixed_size 0
		.amdhsa_kernarg_size 120
		.amdhsa_user_sgpr_count 6
		.amdhsa_user_sgpr_private_segment_buffer 1
		.amdhsa_user_sgpr_dispatch_ptr 0
		.amdhsa_user_sgpr_queue_ptr 0
		.amdhsa_user_sgpr_kernarg_segment_ptr 1
		.amdhsa_user_sgpr_dispatch_id 0
		.amdhsa_user_sgpr_flat_scratch_init 0
		.amdhsa_user_sgpr_private_segment_size 0
		.amdhsa_wavefront_size32 1
		.amdhsa_uses_dynamic_stack 0
		.amdhsa_system_sgpr_private_segment_wavefront_offset 0
		.amdhsa_system_sgpr_workgroup_id_x 1
		.amdhsa_system_sgpr_workgroup_id_y 0
		.amdhsa_system_sgpr_workgroup_id_z 0
		.amdhsa_system_sgpr_workgroup_info 0
		.amdhsa_system_vgpr_workitem_id 0
		.amdhsa_next_free_vgpr 1
		.amdhsa_next_free_sgpr 1
		.amdhsa_reserve_vcc 0
		.amdhsa_reserve_flat_scratch 0
		.amdhsa_float_round_mode_32 0
		.amdhsa_float_round_mode_16_64 0
		.amdhsa_float_denorm_mode_32 3
		.amdhsa_float_denorm_mode_16_64 3
		.amdhsa_dx10_clamp 1
		.amdhsa_ieee_mode 1
		.amdhsa_fp16_overflow 0
		.amdhsa_workgroup_processor_mode 1
		.amdhsa_memory_ordered 1
		.amdhsa_forward_progress 1
		.amdhsa_shared_vgpr_count 0
		.amdhsa_exception_fp_ieee_invalid_op 0
		.amdhsa_exception_fp_denorm_src 0
		.amdhsa_exception_fp_ieee_div_zero 0
		.amdhsa_exception_fp_ieee_overflow 0
		.amdhsa_exception_fp_ieee_underflow 0
		.amdhsa_exception_fp_ieee_inexact 0
		.amdhsa_exception_int_div_zero 0
	.end_amdhsa_kernel
	.section	.text._ZN7rocprim17ROCPRIM_400000_NS6detail17trampoline_kernelINS0_14default_configENS1_29reduce_by_key_config_selectorIifN6thrust23THRUST_200600_302600_NS4plusIfEEEEZZNS1_33reduce_by_key_impl_wrapped_configILNS1_25lookback_scan_determinismE0ES3_S9_NS6_6detail15normal_iteratorINS6_10device_ptrIiEEEENSD_INSE_IfEEEESG_SI_PmS8_NS6_8equal_toIiEEEE10hipError_tPvRmT2_T3_mT4_T5_T6_T7_T8_P12ihipStream_tbENKUlT_T0_E_clISt17integral_constantIbLb0EES13_EEDaSY_SZ_EUlSY_E_NS1_11comp_targetILNS1_3genE10ELNS1_11target_archE1201ELNS1_3gpuE5ELNS1_3repE0EEENS1_30default_config_static_selectorELNS0_4arch9wavefront6targetE0EEEvT1_,"axG",@progbits,_ZN7rocprim17ROCPRIM_400000_NS6detail17trampoline_kernelINS0_14default_configENS1_29reduce_by_key_config_selectorIifN6thrust23THRUST_200600_302600_NS4plusIfEEEEZZNS1_33reduce_by_key_impl_wrapped_configILNS1_25lookback_scan_determinismE0ES3_S9_NS6_6detail15normal_iteratorINS6_10device_ptrIiEEEENSD_INSE_IfEEEESG_SI_PmS8_NS6_8equal_toIiEEEE10hipError_tPvRmT2_T3_mT4_T5_T6_T7_T8_P12ihipStream_tbENKUlT_T0_E_clISt17integral_constantIbLb0EES13_EEDaSY_SZ_EUlSY_E_NS1_11comp_targetILNS1_3genE10ELNS1_11target_archE1201ELNS1_3gpuE5ELNS1_3repE0EEENS1_30default_config_static_selectorELNS0_4arch9wavefront6targetE0EEEvT1_,comdat
.Lfunc_end71:
	.size	_ZN7rocprim17ROCPRIM_400000_NS6detail17trampoline_kernelINS0_14default_configENS1_29reduce_by_key_config_selectorIifN6thrust23THRUST_200600_302600_NS4plusIfEEEEZZNS1_33reduce_by_key_impl_wrapped_configILNS1_25lookback_scan_determinismE0ES3_S9_NS6_6detail15normal_iteratorINS6_10device_ptrIiEEEENSD_INSE_IfEEEESG_SI_PmS8_NS6_8equal_toIiEEEE10hipError_tPvRmT2_T3_mT4_T5_T6_T7_T8_P12ihipStream_tbENKUlT_T0_E_clISt17integral_constantIbLb0EES13_EEDaSY_SZ_EUlSY_E_NS1_11comp_targetILNS1_3genE10ELNS1_11target_archE1201ELNS1_3gpuE5ELNS1_3repE0EEENS1_30default_config_static_selectorELNS0_4arch9wavefront6targetE0EEEvT1_, .Lfunc_end71-_ZN7rocprim17ROCPRIM_400000_NS6detail17trampoline_kernelINS0_14default_configENS1_29reduce_by_key_config_selectorIifN6thrust23THRUST_200600_302600_NS4plusIfEEEEZZNS1_33reduce_by_key_impl_wrapped_configILNS1_25lookback_scan_determinismE0ES3_S9_NS6_6detail15normal_iteratorINS6_10device_ptrIiEEEENSD_INSE_IfEEEESG_SI_PmS8_NS6_8equal_toIiEEEE10hipError_tPvRmT2_T3_mT4_T5_T6_T7_T8_P12ihipStream_tbENKUlT_T0_E_clISt17integral_constantIbLb0EES13_EEDaSY_SZ_EUlSY_E_NS1_11comp_targetILNS1_3genE10ELNS1_11target_archE1201ELNS1_3gpuE5ELNS1_3repE0EEENS1_30default_config_static_selectorELNS0_4arch9wavefront6targetE0EEEvT1_
                                        ; -- End function
	.set _ZN7rocprim17ROCPRIM_400000_NS6detail17trampoline_kernelINS0_14default_configENS1_29reduce_by_key_config_selectorIifN6thrust23THRUST_200600_302600_NS4plusIfEEEEZZNS1_33reduce_by_key_impl_wrapped_configILNS1_25lookback_scan_determinismE0ES3_S9_NS6_6detail15normal_iteratorINS6_10device_ptrIiEEEENSD_INSE_IfEEEESG_SI_PmS8_NS6_8equal_toIiEEEE10hipError_tPvRmT2_T3_mT4_T5_T6_T7_T8_P12ihipStream_tbENKUlT_T0_E_clISt17integral_constantIbLb0EES13_EEDaSY_SZ_EUlSY_E_NS1_11comp_targetILNS1_3genE10ELNS1_11target_archE1201ELNS1_3gpuE5ELNS1_3repE0EEENS1_30default_config_static_selectorELNS0_4arch9wavefront6targetE0EEEvT1_.num_vgpr, 0
	.set _ZN7rocprim17ROCPRIM_400000_NS6detail17trampoline_kernelINS0_14default_configENS1_29reduce_by_key_config_selectorIifN6thrust23THRUST_200600_302600_NS4plusIfEEEEZZNS1_33reduce_by_key_impl_wrapped_configILNS1_25lookback_scan_determinismE0ES3_S9_NS6_6detail15normal_iteratorINS6_10device_ptrIiEEEENSD_INSE_IfEEEESG_SI_PmS8_NS6_8equal_toIiEEEE10hipError_tPvRmT2_T3_mT4_T5_T6_T7_T8_P12ihipStream_tbENKUlT_T0_E_clISt17integral_constantIbLb0EES13_EEDaSY_SZ_EUlSY_E_NS1_11comp_targetILNS1_3genE10ELNS1_11target_archE1201ELNS1_3gpuE5ELNS1_3repE0EEENS1_30default_config_static_selectorELNS0_4arch9wavefront6targetE0EEEvT1_.num_agpr, 0
	.set _ZN7rocprim17ROCPRIM_400000_NS6detail17trampoline_kernelINS0_14default_configENS1_29reduce_by_key_config_selectorIifN6thrust23THRUST_200600_302600_NS4plusIfEEEEZZNS1_33reduce_by_key_impl_wrapped_configILNS1_25lookback_scan_determinismE0ES3_S9_NS6_6detail15normal_iteratorINS6_10device_ptrIiEEEENSD_INSE_IfEEEESG_SI_PmS8_NS6_8equal_toIiEEEE10hipError_tPvRmT2_T3_mT4_T5_T6_T7_T8_P12ihipStream_tbENKUlT_T0_E_clISt17integral_constantIbLb0EES13_EEDaSY_SZ_EUlSY_E_NS1_11comp_targetILNS1_3genE10ELNS1_11target_archE1201ELNS1_3gpuE5ELNS1_3repE0EEENS1_30default_config_static_selectorELNS0_4arch9wavefront6targetE0EEEvT1_.numbered_sgpr, 0
	.set _ZN7rocprim17ROCPRIM_400000_NS6detail17trampoline_kernelINS0_14default_configENS1_29reduce_by_key_config_selectorIifN6thrust23THRUST_200600_302600_NS4plusIfEEEEZZNS1_33reduce_by_key_impl_wrapped_configILNS1_25lookback_scan_determinismE0ES3_S9_NS6_6detail15normal_iteratorINS6_10device_ptrIiEEEENSD_INSE_IfEEEESG_SI_PmS8_NS6_8equal_toIiEEEE10hipError_tPvRmT2_T3_mT4_T5_T6_T7_T8_P12ihipStream_tbENKUlT_T0_E_clISt17integral_constantIbLb0EES13_EEDaSY_SZ_EUlSY_E_NS1_11comp_targetILNS1_3genE10ELNS1_11target_archE1201ELNS1_3gpuE5ELNS1_3repE0EEENS1_30default_config_static_selectorELNS0_4arch9wavefront6targetE0EEEvT1_.num_named_barrier, 0
	.set _ZN7rocprim17ROCPRIM_400000_NS6detail17trampoline_kernelINS0_14default_configENS1_29reduce_by_key_config_selectorIifN6thrust23THRUST_200600_302600_NS4plusIfEEEEZZNS1_33reduce_by_key_impl_wrapped_configILNS1_25lookback_scan_determinismE0ES3_S9_NS6_6detail15normal_iteratorINS6_10device_ptrIiEEEENSD_INSE_IfEEEESG_SI_PmS8_NS6_8equal_toIiEEEE10hipError_tPvRmT2_T3_mT4_T5_T6_T7_T8_P12ihipStream_tbENKUlT_T0_E_clISt17integral_constantIbLb0EES13_EEDaSY_SZ_EUlSY_E_NS1_11comp_targetILNS1_3genE10ELNS1_11target_archE1201ELNS1_3gpuE5ELNS1_3repE0EEENS1_30default_config_static_selectorELNS0_4arch9wavefront6targetE0EEEvT1_.private_seg_size, 0
	.set _ZN7rocprim17ROCPRIM_400000_NS6detail17trampoline_kernelINS0_14default_configENS1_29reduce_by_key_config_selectorIifN6thrust23THRUST_200600_302600_NS4plusIfEEEEZZNS1_33reduce_by_key_impl_wrapped_configILNS1_25lookback_scan_determinismE0ES3_S9_NS6_6detail15normal_iteratorINS6_10device_ptrIiEEEENSD_INSE_IfEEEESG_SI_PmS8_NS6_8equal_toIiEEEE10hipError_tPvRmT2_T3_mT4_T5_T6_T7_T8_P12ihipStream_tbENKUlT_T0_E_clISt17integral_constantIbLb0EES13_EEDaSY_SZ_EUlSY_E_NS1_11comp_targetILNS1_3genE10ELNS1_11target_archE1201ELNS1_3gpuE5ELNS1_3repE0EEENS1_30default_config_static_selectorELNS0_4arch9wavefront6targetE0EEEvT1_.uses_vcc, 0
	.set _ZN7rocprim17ROCPRIM_400000_NS6detail17trampoline_kernelINS0_14default_configENS1_29reduce_by_key_config_selectorIifN6thrust23THRUST_200600_302600_NS4plusIfEEEEZZNS1_33reduce_by_key_impl_wrapped_configILNS1_25lookback_scan_determinismE0ES3_S9_NS6_6detail15normal_iteratorINS6_10device_ptrIiEEEENSD_INSE_IfEEEESG_SI_PmS8_NS6_8equal_toIiEEEE10hipError_tPvRmT2_T3_mT4_T5_T6_T7_T8_P12ihipStream_tbENKUlT_T0_E_clISt17integral_constantIbLb0EES13_EEDaSY_SZ_EUlSY_E_NS1_11comp_targetILNS1_3genE10ELNS1_11target_archE1201ELNS1_3gpuE5ELNS1_3repE0EEENS1_30default_config_static_selectorELNS0_4arch9wavefront6targetE0EEEvT1_.uses_flat_scratch, 0
	.set _ZN7rocprim17ROCPRIM_400000_NS6detail17trampoline_kernelINS0_14default_configENS1_29reduce_by_key_config_selectorIifN6thrust23THRUST_200600_302600_NS4plusIfEEEEZZNS1_33reduce_by_key_impl_wrapped_configILNS1_25lookback_scan_determinismE0ES3_S9_NS6_6detail15normal_iteratorINS6_10device_ptrIiEEEENSD_INSE_IfEEEESG_SI_PmS8_NS6_8equal_toIiEEEE10hipError_tPvRmT2_T3_mT4_T5_T6_T7_T8_P12ihipStream_tbENKUlT_T0_E_clISt17integral_constantIbLb0EES13_EEDaSY_SZ_EUlSY_E_NS1_11comp_targetILNS1_3genE10ELNS1_11target_archE1201ELNS1_3gpuE5ELNS1_3repE0EEENS1_30default_config_static_selectorELNS0_4arch9wavefront6targetE0EEEvT1_.has_dyn_sized_stack, 0
	.set _ZN7rocprim17ROCPRIM_400000_NS6detail17trampoline_kernelINS0_14default_configENS1_29reduce_by_key_config_selectorIifN6thrust23THRUST_200600_302600_NS4plusIfEEEEZZNS1_33reduce_by_key_impl_wrapped_configILNS1_25lookback_scan_determinismE0ES3_S9_NS6_6detail15normal_iteratorINS6_10device_ptrIiEEEENSD_INSE_IfEEEESG_SI_PmS8_NS6_8equal_toIiEEEE10hipError_tPvRmT2_T3_mT4_T5_T6_T7_T8_P12ihipStream_tbENKUlT_T0_E_clISt17integral_constantIbLb0EES13_EEDaSY_SZ_EUlSY_E_NS1_11comp_targetILNS1_3genE10ELNS1_11target_archE1201ELNS1_3gpuE5ELNS1_3repE0EEENS1_30default_config_static_selectorELNS0_4arch9wavefront6targetE0EEEvT1_.has_recursion, 0
	.set _ZN7rocprim17ROCPRIM_400000_NS6detail17trampoline_kernelINS0_14default_configENS1_29reduce_by_key_config_selectorIifN6thrust23THRUST_200600_302600_NS4plusIfEEEEZZNS1_33reduce_by_key_impl_wrapped_configILNS1_25lookback_scan_determinismE0ES3_S9_NS6_6detail15normal_iteratorINS6_10device_ptrIiEEEENSD_INSE_IfEEEESG_SI_PmS8_NS6_8equal_toIiEEEE10hipError_tPvRmT2_T3_mT4_T5_T6_T7_T8_P12ihipStream_tbENKUlT_T0_E_clISt17integral_constantIbLb0EES13_EEDaSY_SZ_EUlSY_E_NS1_11comp_targetILNS1_3genE10ELNS1_11target_archE1201ELNS1_3gpuE5ELNS1_3repE0EEENS1_30default_config_static_selectorELNS0_4arch9wavefront6targetE0EEEvT1_.has_indirect_call, 0
	.section	.AMDGPU.csdata,"",@progbits
; Kernel info:
; codeLenInByte = 0
; TotalNumSgprs: 0
; NumVgprs: 0
; ScratchSize: 0
; MemoryBound: 0
; FloatMode: 240
; IeeeMode: 1
; LDSByteSize: 0 bytes/workgroup (compile time only)
; SGPRBlocks: 0
; VGPRBlocks: 0
; NumSGPRsForWavesPerEU: 1
; NumVGPRsForWavesPerEU: 1
; Occupancy: 16
; WaveLimiterHint : 0
; COMPUTE_PGM_RSRC2:SCRATCH_EN: 0
; COMPUTE_PGM_RSRC2:USER_SGPR: 6
; COMPUTE_PGM_RSRC2:TRAP_HANDLER: 0
; COMPUTE_PGM_RSRC2:TGID_X_EN: 1
; COMPUTE_PGM_RSRC2:TGID_Y_EN: 0
; COMPUTE_PGM_RSRC2:TGID_Z_EN: 0
; COMPUTE_PGM_RSRC2:TIDIG_COMP_CNT: 0
	.section	.text._ZN7rocprim17ROCPRIM_400000_NS6detail17trampoline_kernelINS0_14default_configENS1_29reduce_by_key_config_selectorIifN6thrust23THRUST_200600_302600_NS4plusIfEEEEZZNS1_33reduce_by_key_impl_wrapped_configILNS1_25lookback_scan_determinismE0ES3_S9_NS6_6detail15normal_iteratorINS6_10device_ptrIiEEEENSD_INSE_IfEEEESG_SI_PmS8_NS6_8equal_toIiEEEE10hipError_tPvRmT2_T3_mT4_T5_T6_T7_T8_P12ihipStream_tbENKUlT_T0_E_clISt17integral_constantIbLb0EES13_EEDaSY_SZ_EUlSY_E_NS1_11comp_targetILNS1_3genE10ELNS1_11target_archE1200ELNS1_3gpuE4ELNS1_3repE0EEENS1_30default_config_static_selectorELNS0_4arch9wavefront6targetE0EEEvT1_,"axG",@progbits,_ZN7rocprim17ROCPRIM_400000_NS6detail17trampoline_kernelINS0_14default_configENS1_29reduce_by_key_config_selectorIifN6thrust23THRUST_200600_302600_NS4plusIfEEEEZZNS1_33reduce_by_key_impl_wrapped_configILNS1_25lookback_scan_determinismE0ES3_S9_NS6_6detail15normal_iteratorINS6_10device_ptrIiEEEENSD_INSE_IfEEEESG_SI_PmS8_NS6_8equal_toIiEEEE10hipError_tPvRmT2_T3_mT4_T5_T6_T7_T8_P12ihipStream_tbENKUlT_T0_E_clISt17integral_constantIbLb0EES13_EEDaSY_SZ_EUlSY_E_NS1_11comp_targetILNS1_3genE10ELNS1_11target_archE1200ELNS1_3gpuE4ELNS1_3repE0EEENS1_30default_config_static_selectorELNS0_4arch9wavefront6targetE0EEEvT1_,comdat
	.protected	_ZN7rocprim17ROCPRIM_400000_NS6detail17trampoline_kernelINS0_14default_configENS1_29reduce_by_key_config_selectorIifN6thrust23THRUST_200600_302600_NS4plusIfEEEEZZNS1_33reduce_by_key_impl_wrapped_configILNS1_25lookback_scan_determinismE0ES3_S9_NS6_6detail15normal_iteratorINS6_10device_ptrIiEEEENSD_INSE_IfEEEESG_SI_PmS8_NS6_8equal_toIiEEEE10hipError_tPvRmT2_T3_mT4_T5_T6_T7_T8_P12ihipStream_tbENKUlT_T0_E_clISt17integral_constantIbLb0EES13_EEDaSY_SZ_EUlSY_E_NS1_11comp_targetILNS1_3genE10ELNS1_11target_archE1200ELNS1_3gpuE4ELNS1_3repE0EEENS1_30default_config_static_selectorELNS0_4arch9wavefront6targetE0EEEvT1_ ; -- Begin function _ZN7rocprim17ROCPRIM_400000_NS6detail17trampoline_kernelINS0_14default_configENS1_29reduce_by_key_config_selectorIifN6thrust23THRUST_200600_302600_NS4plusIfEEEEZZNS1_33reduce_by_key_impl_wrapped_configILNS1_25lookback_scan_determinismE0ES3_S9_NS6_6detail15normal_iteratorINS6_10device_ptrIiEEEENSD_INSE_IfEEEESG_SI_PmS8_NS6_8equal_toIiEEEE10hipError_tPvRmT2_T3_mT4_T5_T6_T7_T8_P12ihipStream_tbENKUlT_T0_E_clISt17integral_constantIbLb0EES13_EEDaSY_SZ_EUlSY_E_NS1_11comp_targetILNS1_3genE10ELNS1_11target_archE1200ELNS1_3gpuE4ELNS1_3repE0EEENS1_30default_config_static_selectorELNS0_4arch9wavefront6targetE0EEEvT1_
	.globl	_ZN7rocprim17ROCPRIM_400000_NS6detail17trampoline_kernelINS0_14default_configENS1_29reduce_by_key_config_selectorIifN6thrust23THRUST_200600_302600_NS4plusIfEEEEZZNS1_33reduce_by_key_impl_wrapped_configILNS1_25lookback_scan_determinismE0ES3_S9_NS6_6detail15normal_iteratorINS6_10device_ptrIiEEEENSD_INSE_IfEEEESG_SI_PmS8_NS6_8equal_toIiEEEE10hipError_tPvRmT2_T3_mT4_T5_T6_T7_T8_P12ihipStream_tbENKUlT_T0_E_clISt17integral_constantIbLb0EES13_EEDaSY_SZ_EUlSY_E_NS1_11comp_targetILNS1_3genE10ELNS1_11target_archE1200ELNS1_3gpuE4ELNS1_3repE0EEENS1_30default_config_static_selectorELNS0_4arch9wavefront6targetE0EEEvT1_
	.p2align	8
	.type	_ZN7rocprim17ROCPRIM_400000_NS6detail17trampoline_kernelINS0_14default_configENS1_29reduce_by_key_config_selectorIifN6thrust23THRUST_200600_302600_NS4plusIfEEEEZZNS1_33reduce_by_key_impl_wrapped_configILNS1_25lookback_scan_determinismE0ES3_S9_NS6_6detail15normal_iteratorINS6_10device_ptrIiEEEENSD_INSE_IfEEEESG_SI_PmS8_NS6_8equal_toIiEEEE10hipError_tPvRmT2_T3_mT4_T5_T6_T7_T8_P12ihipStream_tbENKUlT_T0_E_clISt17integral_constantIbLb0EES13_EEDaSY_SZ_EUlSY_E_NS1_11comp_targetILNS1_3genE10ELNS1_11target_archE1200ELNS1_3gpuE4ELNS1_3repE0EEENS1_30default_config_static_selectorELNS0_4arch9wavefront6targetE0EEEvT1_,@function
_ZN7rocprim17ROCPRIM_400000_NS6detail17trampoline_kernelINS0_14default_configENS1_29reduce_by_key_config_selectorIifN6thrust23THRUST_200600_302600_NS4plusIfEEEEZZNS1_33reduce_by_key_impl_wrapped_configILNS1_25lookback_scan_determinismE0ES3_S9_NS6_6detail15normal_iteratorINS6_10device_ptrIiEEEENSD_INSE_IfEEEESG_SI_PmS8_NS6_8equal_toIiEEEE10hipError_tPvRmT2_T3_mT4_T5_T6_T7_T8_P12ihipStream_tbENKUlT_T0_E_clISt17integral_constantIbLb0EES13_EEDaSY_SZ_EUlSY_E_NS1_11comp_targetILNS1_3genE10ELNS1_11target_archE1200ELNS1_3gpuE4ELNS1_3repE0EEENS1_30default_config_static_selectorELNS0_4arch9wavefront6targetE0EEEvT1_: ; @_ZN7rocprim17ROCPRIM_400000_NS6detail17trampoline_kernelINS0_14default_configENS1_29reduce_by_key_config_selectorIifN6thrust23THRUST_200600_302600_NS4plusIfEEEEZZNS1_33reduce_by_key_impl_wrapped_configILNS1_25lookback_scan_determinismE0ES3_S9_NS6_6detail15normal_iteratorINS6_10device_ptrIiEEEENSD_INSE_IfEEEESG_SI_PmS8_NS6_8equal_toIiEEEE10hipError_tPvRmT2_T3_mT4_T5_T6_T7_T8_P12ihipStream_tbENKUlT_T0_E_clISt17integral_constantIbLb0EES13_EEDaSY_SZ_EUlSY_E_NS1_11comp_targetILNS1_3genE10ELNS1_11target_archE1200ELNS1_3gpuE4ELNS1_3repE0EEENS1_30default_config_static_selectorELNS0_4arch9wavefront6targetE0EEEvT1_
; %bb.0:
	.section	.rodata,"a",@progbits
	.p2align	6, 0x0
	.amdhsa_kernel _ZN7rocprim17ROCPRIM_400000_NS6detail17trampoline_kernelINS0_14default_configENS1_29reduce_by_key_config_selectorIifN6thrust23THRUST_200600_302600_NS4plusIfEEEEZZNS1_33reduce_by_key_impl_wrapped_configILNS1_25lookback_scan_determinismE0ES3_S9_NS6_6detail15normal_iteratorINS6_10device_ptrIiEEEENSD_INSE_IfEEEESG_SI_PmS8_NS6_8equal_toIiEEEE10hipError_tPvRmT2_T3_mT4_T5_T6_T7_T8_P12ihipStream_tbENKUlT_T0_E_clISt17integral_constantIbLb0EES13_EEDaSY_SZ_EUlSY_E_NS1_11comp_targetILNS1_3genE10ELNS1_11target_archE1200ELNS1_3gpuE4ELNS1_3repE0EEENS1_30default_config_static_selectorELNS0_4arch9wavefront6targetE0EEEvT1_
		.amdhsa_group_segment_fixed_size 0
		.amdhsa_private_segment_fixed_size 0
		.amdhsa_kernarg_size 120
		.amdhsa_user_sgpr_count 6
		.amdhsa_user_sgpr_private_segment_buffer 1
		.amdhsa_user_sgpr_dispatch_ptr 0
		.amdhsa_user_sgpr_queue_ptr 0
		.amdhsa_user_sgpr_kernarg_segment_ptr 1
		.amdhsa_user_sgpr_dispatch_id 0
		.amdhsa_user_sgpr_flat_scratch_init 0
		.amdhsa_user_sgpr_private_segment_size 0
		.amdhsa_wavefront_size32 1
		.amdhsa_uses_dynamic_stack 0
		.amdhsa_system_sgpr_private_segment_wavefront_offset 0
		.amdhsa_system_sgpr_workgroup_id_x 1
		.amdhsa_system_sgpr_workgroup_id_y 0
		.amdhsa_system_sgpr_workgroup_id_z 0
		.amdhsa_system_sgpr_workgroup_info 0
		.amdhsa_system_vgpr_workitem_id 0
		.amdhsa_next_free_vgpr 1
		.amdhsa_next_free_sgpr 1
		.amdhsa_reserve_vcc 0
		.amdhsa_reserve_flat_scratch 0
		.amdhsa_float_round_mode_32 0
		.amdhsa_float_round_mode_16_64 0
		.amdhsa_float_denorm_mode_32 3
		.amdhsa_float_denorm_mode_16_64 3
		.amdhsa_dx10_clamp 1
		.amdhsa_ieee_mode 1
		.amdhsa_fp16_overflow 0
		.amdhsa_workgroup_processor_mode 1
		.amdhsa_memory_ordered 1
		.amdhsa_forward_progress 1
		.amdhsa_shared_vgpr_count 0
		.amdhsa_exception_fp_ieee_invalid_op 0
		.amdhsa_exception_fp_denorm_src 0
		.amdhsa_exception_fp_ieee_div_zero 0
		.amdhsa_exception_fp_ieee_overflow 0
		.amdhsa_exception_fp_ieee_underflow 0
		.amdhsa_exception_fp_ieee_inexact 0
		.amdhsa_exception_int_div_zero 0
	.end_amdhsa_kernel
	.section	.text._ZN7rocprim17ROCPRIM_400000_NS6detail17trampoline_kernelINS0_14default_configENS1_29reduce_by_key_config_selectorIifN6thrust23THRUST_200600_302600_NS4plusIfEEEEZZNS1_33reduce_by_key_impl_wrapped_configILNS1_25lookback_scan_determinismE0ES3_S9_NS6_6detail15normal_iteratorINS6_10device_ptrIiEEEENSD_INSE_IfEEEESG_SI_PmS8_NS6_8equal_toIiEEEE10hipError_tPvRmT2_T3_mT4_T5_T6_T7_T8_P12ihipStream_tbENKUlT_T0_E_clISt17integral_constantIbLb0EES13_EEDaSY_SZ_EUlSY_E_NS1_11comp_targetILNS1_3genE10ELNS1_11target_archE1200ELNS1_3gpuE4ELNS1_3repE0EEENS1_30default_config_static_selectorELNS0_4arch9wavefront6targetE0EEEvT1_,"axG",@progbits,_ZN7rocprim17ROCPRIM_400000_NS6detail17trampoline_kernelINS0_14default_configENS1_29reduce_by_key_config_selectorIifN6thrust23THRUST_200600_302600_NS4plusIfEEEEZZNS1_33reduce_by_key_impl_wrapped_configILNS1_25lookback_scan_determinismE0ES3_S9_NS6_6detail15normal_iteratorINS6_10device_ptrIiEEEENSD_INSE_IfEEEESG_SI_PmS8_NS6_8equal_toIiEEEE10hipError_tPvRmT2_T3_mT4_T5_T6_T7_T8_P12ihipStream_tbENKUlT_T0_E_clISt17integral_constantIbLb0EES13_EEDaSY_SZ_EUlSY_E_NS1_11comp_targetILNS1_3genE10ELNS1_11target_archE1200ELNS1_3gpuE4ELNS1_3repE0EEENS1_30default_config_static_selectorELNS0_4arch9wavefront6targetE0EEEvT1_,comdat
.Lfunc_end72:
	.size	_ZN7rocprim17ROCPRIM_400000_NS6detail17trampoline_kernelINS0_14default_configENS1_29reduce_by_key_config_selectorIifN6thrust23THRUST_200600_302600_NS4plusIfEEEEZZNS1_33reduce_by_key_impl_wrapped_configILNS1_25lookback_scan_determinismE0ES3_S9_NS6_6detail15normal_iteratorINS6_10device_ptrIiEEEENSD_INSE_IfEEEESG_SI_PmS8_NS6_8equal_toIiEEEE10hipError_tPvRmT2_T3_mT4_T5_T6_T7_T8_P12ihipStream_tbENKUlT_T0_E_clISt17integral_constantIbLb0EES13_EEDaSY_SZ_EUlSY_E_NS1_11comp_targetILNS1_3genE10ELNS1_11target_archE1200ELNS1_3gpuE4ELNS1_3repE0EEENS1_30default_config_static_selectorELNS0_4arch9wavefront6targetE0EEEvT1_, .Lfunc_end72-_ZN7rocprim17ROCPRIM_400000_NS6detail17trampoline_kernelINS0_14default_configENS1_29reduce_by_key_config_selectorIifN6thrust23THRUST_200600_302600_NS4plusIfEEEEZZNS1_33reduce_by_key_impl_wrapped_configILNS1_25lookback_scan_determinismE0ES3_S9_NS6_6detail15normal_iteratorINS6_10device_ptrIiEEEENSD_INSE_IfEEEESG_SI_PmS8_NS6_8equal_toIiEEEE10hipError_tPvRmT2_T3_mT4_T5_T6_T7_T8_P12ihipStream_tbENKUlT_T0_E_clISt17integral_constantIbLb0EES13_EEDaSY_SZ_EUlSY_E_NS1_11comp_targetILNS1_3genE10ELNS1_11target_archE1200ELNS1_3gpuE4ELNS1_3repE0EEENS1_30default_config_static_selectorELNS0_4arch9wavefront6targetE0EEEvT1_
                                        ; -- End function
	.set _ZN7rocprim17ROCPRIM_400000_NS6detail17trampoline_kernelINS0_14default_configENS1_29reduce_by_key_config_selectorIifN6thrust23THRUST_200600_302600_NS4plusIfEEEEZZNS1_33reduce_by_key_impl_wrapped_configILNS1_25lookback_scan_determinismE0ES3_S9_NS6_6detail15normal_iteratorINS6_10device_ptrIiEEEENSD_INSE_IfEEEESG_SI_PmS8_NS6_8equal_toIiEEEE10hipError_tPvRmT2_T3_mT4_T5_T6_T7_T8_P12ihipStream_tbENKUlT_T0_E_clISt17integral_constantIbLb0EES13_EEDaSY_SZ_EUlSY_E_NS1_11comp_targetILNS1_3genE10ELNS1_11target_archE1200ELNS1_3gpuE4ELNS1_3repE0EEENS1_30default_config_static_selectorELNS0_4arch9wavefront6targetE0EEEvT1_.num_vgpr, 0
	.set _ZN7rocprim17ROCPRIM_400000_NS6detail17trampoline_kernelINS0_14default_configENS1_29reduce_by_key_config_selectorIifN6thrust23THRUST_200600_302600_NS4plusIfEEEEZZNS1_33reduce_by_key_impl_wrapped_configILNS1_25lookback_scan_determinismE0ES3_S9_NS6_6detail15normal_iteratorINS6_10device_ptrIiEEEENSD_INSE_IfEEEESG_SI_PmS8_NS6_8equal_toIiEEEE10hipError_tPvRmT2_T3_mT4_T5_T6_T7_T8_P12ihipStream_tbENKUlT_T0_E_clISt17integral_constantIbLb0EES13_EEDaSY_SZ_EUlSY_E_NS1_11comp_targetILNS1_3genE10ELNS1_11target_archE1200ELNS1_3gpuE4ELNS1_3repE0EEENS1_30default_config_static_selectorELNS0_4arch9wavefront6targetE0EEEvT1_.num_agpr, 0
	.set _ZN7rocprim17ROCPRIM_400000_NS6detail17trampoline_kernelINS0_14default_configENS1_29reduce_by_key_config_selectorIifN6thrust23THRUST_200600_302600_NS4plusIfEEEEZZNS1_33reduce_by_key_impl_wrapped_configILNS1_25lookback_scan_determinismE0ES3_S9_NS6_6detail15normal_iteratorINS6_10device_ptrIiEEEENSD_INSE_IfEEEESG_SI_PmS8_NS6_8equal_toIiEEEE10hipError_tPvRmT2_T3_mT4_T5_T6_T7_T8_P12ihipStream_tbENKUlT_T0_E_clISt17integral_constantIbLb0EES13_EEDaSY_SZ_EUlSY_E_NS1_11comp_targetILNS1_3genE10ELNS1_11target_archE1200ELNS1_3gpuE4ELNS1_3repE0EEENS1_30default_config_static_selectorELNS0_4arch9wavefront6targetE0EEEvT1_.numbered_sgpr, 0
	.set _ZN7rocprim17ROCPRIM_400000_NS6detail17trampoline_kernelINS0_14default_configENS1_29reduce_by_key_config_selectorIifN6thrust23THRUST_200600_302600_NS4plusIfEEEEZZNS1_33reduce_by_key_impl_wrapped_configILNS1_25lookback_scan_determinismE0ES3_S9_NS6_6detail15normal_iteratorINS6_10device_ptrIiEEEENSD_INSE_IfEEEESG_SI_PmS8_NS6_8equal_toIiEEEE10hipError_tPvRmT2_T3_mT4_T5_T6_T7_T8_P12ihipStream_tbENKUlT_T0_E_clISt17integral_constantIbLb0EES13_EEDaSY_SZ_EUlSY_E_NS1_11comp_targetILNS1_3genE10ELNS1_11target_archE1200ELNS1_3gpuE4ELNS1_3repE0EEENS1_30default_config_static_selectorELNS0_4arch9wavefront6targetE0EEEvT1_.num_named_barrier, 0
	.set _ZN7rocprim17ROCPRIM_400000_NS6detail17trampoline_kernelINS0_14default_configENS1_29reduce_by_key_config_selectorIifN6thrust23THRUST_200600_302600_NS4plusIfEEEEZZNS1_33reduce_by_key_impl_wrapped_configILNS1_25lookback_scan_determinismE0ES3_S9_NS6_6detail15normal_iteratorINS6_10device_ptrIiEEEENSD_INSE_IfEEEESG_SI_PmS8_NS6_8equal_toIiEEEE10hipError_tPvRmT2_T3_mT4_T5_T6_T7_T8_P12ihipStream_tbENKUlT_T0_E_clISt17integral_constantIbLb0EES13_EEDaSY_SZ_EUlSY_E_NS1_11comp_targetILNS1_3genE10ELNS1_11target_archE1200ELNS1_3gpuE4ELNS1_3repE0EEENS1_30default_config_static_selectorELNS0_4arch9wavefront6targetE0EEEvT1_.private_seg_size, 0
	.set _ZN7rocprim17ROCPRIM_400000_NS6detail17trampoline_kernelINS0_14default_configENS1_29reduce_by_key_config_selectorIifN6thrust23THRUST_200600_302600_NS4plusIfEEEEZZNS1_33reduce_by_key_impl_wrapped_configILNS1_25lookback_scan_determinismE0ES3_S9_NS6_6detail15normal_iteratorINS6_10device_ptrIiEEEENSD_INSE_IfEEEESG_SI_PmS8_NS6_8equal_toIiEEEE10hipError_tPvRmT2_T3_mT4_T5_T6_T7_T8_P12ihipStream_tbENKUlT_T0_E_clISt17integral_constantIbLb0EES13_EEDaSY_SZ_EUlSY_E_NS1_11comp_targetILNS1_3genE10ELNS1_11target_archE1200ELNS1_3gpuE4ELNS1_3repE0EEENS1_30default_config_static_selectorELNS0_4arch9wavefront6targetE0EEEvT1_.uses_vcc, 0
	.set _ZN7rocprim17ROCPRIM_400000_NS6detail17trampoline_kernelINS0_14default_configENS1_29reduce_by_key_config_selectorIifN6thrust23THRUST_200600_302600_NS4plusIfEEEEZZNS1_33reduce_by_key_impl_wrapped_configILNS1_25lookback_scan_determinismE0ES3_S9_NS6_6detail15normal_iteratorINS6_10device_ptrIiEEEENSD_INSE_IfEEEESG_SI_PmS8_NS6_8equal_toIiEEEE10hipError_tPvRmT2_T3_mT4_T5_T6_T7_T8_P12ihipStream_tbENKUlT_T0_E_clISt17integral_constantIbLb0EES13_EEDaSY_SZ_EUlSY_E_NS1_11comp_targetILNS1_3genE10ELNS1_11target_archE1200ELNS1_3gpuE4ELNS1_3repE0EEENS1_30default_config_static_selectorELNS0_4arch9wavefront6targetE0EEEvT1_.uses_flat_scratch, 0
	.set _ZN7rocprim17ROCPRIM_400000_NS6detail17trampoline_kernelINS0_14default_configENS1_29reduce_by_key_config_selectorIifN6thrust23THRUST_200600_302600_NS4plusIfEEEEZZNS1_33reduce_by_key_impl_wrapped_configILNS1_25lookback_scan_determinismE0ES3_S9_NS6_6detail15normal_iteratorINS6_10device_ptrIiEEEENSD_INSE_IfEEEESG_SI_PmS8_NS6_8equal_toIiEEEE10hipError_tPvRmT2_T3_mT4_T5_T6_T7_T8_P12ihipStream_tbENKUlT_T0_E_clISt17integral_constantIbLb0EES13_EEDaSY_SZ_EUlSY_E_NS1_11comp_targetILNS1_3genE10ELNS1_11target_archE1200ELNS1_3gpuE4ELNS1_3repE0EEENS1_30default_config_static_selectorELNS0_4arch9wavefront6targetE0EEEvT1_.has_dyn_sized_stack, 0
	.set _ZN7rocprim17ROCPRIM_400000_NS6detail17trampoline_kernelINS0_14default_configENS1_29reduce_by_key_config_selectorIifN6thrust23THRUST_200600_302600_NS4plusIfEEEEZZNS1_33reduce_by_key_impl_wrapped_configILNS1_25lookback_scan_determinismE0ES3_S9_NS6_6detail15normal_iteratorINS6_10device_ptrIiEEEENSD_INSE_IfEEEESG_SI_PmS8_NS6_8equal_toIiEEEE10hipError_tPvRmT2_T3_mT4_T5_T6_T7_T8_P12ihipStream_tbENKUlT_T0_E_clISt17integral_constantIbLb0EES13_EEDaSY_SZ_EUlSY_E_NS1_11comp_targetILNS1_3genE10ELNS1_11target_archE1200ELNS1_3gpuE4ELNS1_3repE0EEENS1_30default_config_static_selectorELNS0_4arch9wavefront6targetE0EEEvT1_.has_recursion, 0
	.set _ZN7rocprim17ROCPRIM_400000_NS6detail17trampoline_kernelINS0_14default_configENS1_29reduce_by_key_config_selectorIifN6thrust23THRUST_200600_302600_NS4plusIfEEEEZZNS1_33reduce_by_key_impl_wrapped_configILNS1_25lookback_scan_determinismE0ES3_S9_NS6_6detail15normal_iteratorINS6_10device_ptrIiEEEENSD_INSE_IfEEEESG_SI_PmS8_NS6_8equal_toIiEEEE10hipError_tPvRmT2_T3_mT4_T5_T6_T7_T8_P12ihipStream_tbENKUlT_T0_E_clISt17integral_constantIbLb0EES13_EEDaSY_SZ_EUlSY_E_NS1_11comp_targetILNS1_3genE10ELNS1_11target_archE1200ELNS1_3gpuE4ELNS1_3repE0EEENS1_30default_config_static_selectorELNS0_4arch9wavefront6targetE0EEEvT1_.has_indirect_call, 0
	.section	.AMDGPU.csdata,"",@progbits
; Kernel info:
; codeLenInByte = 0
; TotalNumSgprs: 0
; NumVgprs: 0
; ScratchSize: 0
; MemoryBound: 0
; FloatMode: 240
; IeeeMode: 1
; LDSByteSize: 0 bytes/workgroup (compile time only)
; SGPRBlocks: 0
; VGPRBlocks: 0
; NumSGPRsForWavesPerEU: 1
; NumVGPRsForWavesPerEU: 1
; Occupancy: 16
; WaveLimiterHint : 0
; COMPUTE_PGM_RSRC2:SCRATCH_EN: 0
; COMPUTE_PGM_RSRC2:USER_SGPR: 6
; COMPUTE_PGM_RSRC2:TRAP_HANDLER: 0
; COMPUTE_PGM_RSRC2:TGID_X_EN: 1
; COMPUTE_PGM_RSRC2:TGID_Y_EN: 0
; COMPUTE_PGM_RSRC2:TGID_Z_EN: 0
; COMPUTE_PGM_RSRC2:TIDIG_COMP_CNT: 0
	.section	.text._ZN7rocprim17ROCPRIM_400000_NS6detail17trampoline_kernelINS0_14default_configENS1_29reduce_by_key_config_selectorIifN6thrust23THRUST_200600_302600_NS4plusIfEEEEZZNS1_33reduce_by_key_impl_wrapped_configILNS1_25lookback_scan_determinismE0ES3_S9_NS6_6detail15normal_iteratorINS6_10device_ptrIiEEEENSD_INSE_IfEEEESG_SI_PmS8_NS6_8equal_toIiEEEE10hipError_tPvRmT2_T3_mT4_T5_T6_T7_T8_P12ihipStream_tbENKUlT_T0_E_clISt17integral_constantIbLb0EES13_EEDaSY_SZ_EUlSY_E_NS1_11comp_targetILNS1_3genE9ELNS1_11target_archE1100ELNS1_3gpuE3ELNS1_3repE0EEENS1_30default_config_static_selectorELNS0_4arch9wavefront6targetE0EEEvT1_,"axG",@progbits,_ZN7rocprim17ROCPRIM_400000_NS6detail17trampoline_kernelINS0_14default_configENS1_29reduce_by_key_config_selectorIifN6thrust23THRUST_200600_302600_NS4plusIfEEEEZZNS1_33reduce_by_key_impl_wrapped_configILNS1_25lookback_scan_determinismE0ES3_S9_NS6_6detail15normal_iteratorINS6_10device_ptrIiEEEENSD_INSE_IfEEEESG_SI_PmS8_NS6_8equal_toIiEEEE10hipError_tPvRmT2_T3_mT4_T5_T6_T7_T8_P12ihipStream_tbENKUlT_T0_E_clISt17integral_constantIbLb0EES13_EEDaSY_SZ_EUlSY_E_NS1_11comp_targetILNS1_3genE9ELNS1_11target_archE1100ELNS1_3gpuE3ELNS1_3repE0EEENS1_30default_config_static_selectorELNS0_4arch9wavefront6targetE0EEEvT1_,comdat
	.protected	_ZN7rocprim17ROCPRIM_400000_NS6detail17trampoline_kernelINS0_14default_configENS1_29reduce_by_key_config_selectorIifN6thrust23THRUST_200600_302600_NS4plusIfEEEEZZNS1_33reduce_by_key_impl_wrapped_configILNS1_25lookback_scan_determinismE0ES3_S9_NS6_6detail15normal_iteratorINS6_10device_ptrIiEEEENSD_INSE_IfEEEESG_SI_PmS8_NS6_8equal_toIiEEEE10hipError_tPvRmT2_T3_mT4_T5_T6_T7_T8_P12ihipStream_tbENKUlT_T0_E_clISt17integral_constantIbLb0EES13_EEDaSY_SZ_EUlSY_E_NS1_11comp_targetILNS1_3genE9ELNS1_11target_archE1100ELNS1_3gpuE3ELNS1_3repE0EEENS1_30default_config_static_selectorELNS0_4arch9wavefront6targetE0EEEvT1_ ; -- Begin function _ZN7rocprim17ROCPRIM_400000_NS6detail17trampoline_kernelINS0_14default_configENS1_29reduce_by_key_config_selectorIifN6thrust23THRUST_200600_302600_NS4plusIfEEEEZZNS1_33reduce_by_key_impl_wrapped_configILNS1_25lookback_scan_determinismE0ES3_S9_NS6_6detail15normal_iteratorINS6_10device_ptrIiEEEENSD_INSE_IfEEEESG_SI_PmS8_NS6_8equal_toIiEEEE10hipError_tPvRmT2_T3_mT4_T5_T6_T7_T8_P12ihipStream_tbENKUlT_T0_E_clISt17integral_constantIbLb0EES13_EEDaSY_SZ_EUlSY_E_NS1_11comp_targetILNS1_3genE9ELNS1_11target_archE1100ELNS1_3gpuE3ELNS1_3repE0EEENS1_30default_config_static_selectorELNS0_4arch9wavefront6targetE0EEEvT1_
	.globl	_ZN7rocprim17ROCPRIM_400000_NS6detail17trampoline_kernelINS0_14default_configENS1_29reduce_by_key_config_selectorIifN6thrust23THRUST_200600_302600_NS4plusIfEEEEZZNS1_33reduce_by_key_impl_wrapped_configILNS1_25lookback_scan_determinismE0ES3_S9_NS6_6detail15normal_iteratorINS6_10device_ptrIiEEEENSD_INSE_IfEEEESG_SI_PmS8_NS6_8equal_toIiEEEE10hipError_tPvRmT2_T3_mT4_T5_T6_T7_T8_P12ihipStream_tbENKUlT_T0_E_clISt17integral_constantIbLb0EES13_EEDaSY_SZ_EUlSY_E_NS1_11comp_targetILNS1_3genE9ELNS1_11target_archE1100ELNS1_3gpuE3ELNS1_3repE0EEENS1_30default_config_static_selectorELNS0_4arch9wavefront6targetE0EEEvT1_
	.p2align	8
	.type	_ZN7rocprim17ROCPRIM_400000_NS6detail17trampoline_kernelINS0_14default_configENS1_29reduce_by_key_config_selectorIifN6thrust23THRUST_200600_302600_NS4plusIfEEEEZZNS1_33reduce_by_key_impl_wrapped_configILNS1_25lookback_scan_determinismE0ES3_S9_NS6_6detail15normal_iteratorINS6_10device_ptrIiEEEENSD_INSE_IfEEEESG_SI_PmS8_NS6_8equal_toIiEEEE10hipError_tPvRmT2_T3_mT4_T5_T6_T7_T8_P12ihipStream_tbENKUlT_T0_E_clISt17integral_constantIbLb0EES13_EEDaSY_SZ_EUlSY_E_NS1_11comp_targetILNS1_3genE9ELNS1_11target_archE1100ELNS1_3gpuE3ELNS1_3repE0EEENS1_30default_config_static_selectorELNS0_4arch9wavefront6targetE0EEEvT1_,@function
_ZN7rocprim17ROCPRIM_400000_NS6detail17trampoline_kernelINS0_14default_configENS1_29reduce_by_key_config_selectorIifN6thrust23THRUST_200600_302600_NS4plusIfEEEEZZNS1_33reduce_by_key_impl_wrapped_configILNS1_25lookback_scan_determinismE0ES3_S9_NS6_6detail15normal_iteratorINS6_10device_ptrIiEEEENSD_INSE_IfEEEESG_SI_PmS8_NS6_8equal_toIiEEEE10hipError_tPvRmT2_T3_mT4_T5_T6_T7_T8_P12ihipStream_tbENKUlT_T0_E_clISt17integral_constantIbLb0EES13_EEDaSY_SZ_EUlSY_E_NS1_11comp_targetILNS1_3genE9ELNS1_11target_archE1100ELNS1_3gpuE3ELNS1_3repE0EEENS1_30default_config_static_selectorELNS0_4arch9wavefront6targetE0EEEvT1_: ; @_ZN7rocprim17ROCPRIM_400000_NS6detail17trampoline_kernelINS0_14default_configENS1_29reduce_by_key_config_selectorIifN6thrust23THRUST_200600_302600_NS4plusIfEEEEZZNS1_33reduce_by_key_impl_wrapped_configILNS1_25lookback_scan_determinismE0ES3_S9_NS6_6detail15normal_iteratorINS6_10device_ptrIiEEEENSD_INSE_IfEEEESG_SI_PmS8_NS6_8equal_toIiEEEE10hipError_tPvRmT2_T3_mT4_T5_T6_T7_T8_P12ihipStream_tbENKUlT_T0_E_clISt17integral_constantIbLb0EES13_EEDaSY_SZ_EUlSY_E_NS1_11comp_targetILNS1_3genE9ELNS1_11target_archE1100ELNS1_3gpuE3ELNS1_3repE0EEENS1_30default_config_static_selectorELNS0_4arch9wavefront6targetE0EEEvT1_
; %bb.0:
	.section	.rodata,"a",@progbits
	.p2align	6, 0x0
	.amdhsa_kernel _ZN7rocprim17ROCPRIM_400000_NS6detail17trampoline_kernelINS0_14default_configENS1_29reduce_by_key_config_selectorIifN6thrust23THRUST_200600_302600_NS4plusIfEEEEZZNS1_33reduce_by_key_impl_wrapped_configILNS1_25lookback_scan_determinismE0ES3_S9_NS6_6detail15normal_iteratorINS6_10device_ptrIiEEEENSD_INSE_IfEEEESG_SI_PmS8_NS6_8equal_toIiEEEE10hipError_tPvRmT2_T3_mT4_T5_T6_T7_T8_P12ihipStream_tbENKUlT_T0_E_clISt17integral_constantIbLb0EES13_EEDaSY_SZ_EUlSY_E_NS1_11comp_targetILNS1_3genE9ELNS1_11target_archE1100ELNS1_3gpuE3ELNS1_3repE0EEENS1_30default_config_static_selectorELNS0_4arch9wavefront6targetE0EEEvT1_
		.amdhsa_group_segment_fixed_size 0
		.amdhsa_private_segment_fixed_size 0
		.amdhsa_kernarg_size 120
		.amdhsa_user_sgpr_count 6
		.amdhsa_user_sgpr_private_segment_buffer 1
		.amdhsa_user_sgpr_dispatch_ptr 0
		.amdhsa_user_sgpr_queue_ptr 0
		.amdhsa_user_sgpr_kernarg_segment_ptr 1
		.amdhsa_user_sgpr_dispatch_id 0
		.amdhsa_user_sgpr_flat_scratch_init 0
		.amdhsa_user_sgpr_private_segment_size 0
		.amdhsa_wavefront_size32 1
		.amdhsa_uses_dynamic_stack 0
		.amdhsa_system_sgpr_private_segment_wavefront_offset 0
		.amdhsa_system_sgpr_workgroup_id_x 1
		.amdhsa_system_sgpr_workgroup_id_y 0
		.amdhsa_system_sgpr_workgroup_id_z 0
		.amdhsa_system_sgpr_workgroup_info 0
		.amdhsa_system_vgpr_workitem_id 0
		.amdhsa_next_free_vgpr 1
		.amdhsa_next_free_sgpr 1
		.amdhsa_reserve_vcc 0
		.amdhsa_reserve_flat_scratch 0
		.amdhsa_float_round_mode_32 0
		.amdhsa_float_round_mode_16_64 0
		.amdhsa_float_denorm_mode_32 3
		.amdhsa_float_denorm_mode_16_64 3
		.amdhsa_dx10_clamp 1
		.amdhsa_ieee_mode 1
		.amdhsa_fp16_overflow 0
		.amdhsa_workgroup_processor_mode 1
		.amdhsa_memory_ordered 1
		.amdhsa_forward_progress 1
		.amdhsa_shared_vgpr_count 0
		.amdhsa_exception_fp_ieee_invalid_op 0
		.amdhsa_exception_fp_denorm_src 0
		.amdhsa_exception_fp_ieee_div_zero 0
		.amdhsa_exception_fp_ieee_overflow 0
		.amdhsa_exception_fp_ieee_underflow 0
		.amdhsa_exception_fp_ieee_inexact 0
		.amdhsa_exception_int_div_zero 0
	.end_amdhsa_kernel
	.section	.text._ZN7rocprim17ROCPRIM_400000_NS6detail17trampoline_kernelINS0_14default_configENS1_29reduce_by_key_config_selectorIifN6thrust23THRUST_200600_302600_NS4plusIfEEEEZZNS1_33reduce_by_key_impl_wrapped_configILNS1_25lookback_scan_determinismE0ES3_S9_NS6_6detail15normal_iteratorINS6_10device_ptrIiEEEENSD_INSE_IfEEEESG_SI_PmS8_NS6_8equal_toIiEEEE10hipError_tPvRmT2_T3_mT4_T5_T6_T7_T8_P12ihipStream_tbENKUlT_T0_E_clISt17integral_constantIbLb0EES13_EEDaSY_SZ_EUlSY_E_NS1_11comp_targetILNS1_3genE9ELNS1_11target_archE1100ELNS1_3gpuE3ELNS1_3repE0EEENS1_30default_config_static_selectorELNS0_4arch9wavefront6targetE0EEEvT1_,"axG",@progbits,_ZN7rocprim17ROCPRIM_400000_NS6detail17trampoline_kernelINS0_14default_configENS1_29reduce_by_key_config_selectorIifN6thrust23THRUST_200600_302600_NS4plusIfEEEEZZNS1_33reduce_by_key_impl_wrapped_configILNS1_25lookback_scan_determinismE0ES3_S9_NS6_6detail15normal_iteratorINS6_10device_ptrIiEEEENSD_INSE_IfEEEESG_SI_PmS8_NS6_8equal_toIiEEEE10hipError_tPvRmT2_T3_mT4_T5_T6_T7_T8_P12ihipStream_tbENKUlT_T0_E_clISt17integral_constantIbLb0EES13_EEDaSY_SZ_EUlSY_E_NS1_11comp_targetILNS1_3genE9ELNS1_11target_archE1100ELNS1_3gpuE3ELNS1_3repE0EEENS1_30default_config_static_selectorELNS0_4arch9wavefront6targetE0EEEvT1_,comdat
.Lfunc_end73:
	.size	_ZN7rocprim17ROCPRIM_400000_NS6detail17trampoline_kernelINS0_14default_configENS1_29reduce_by_key_config_selectorIifN6thrust23THRUST_200600_302600_NS4plusIfEEEEZZNS1_33reduce_by_key_impl_wrapped_configILNS1_25lookback_scan_determinismE0ES3_S9_NS6_6detail15normal_iteratorINS6_10device_ptrIiEEEENSD_INSE_IfEEEESG_SI_PmS8_NS6_8equal_toIiEEEE10hipError_tPvRmT2_T3_mT4_T5_T6_T7_T8_P12ihipStream_tbENKUlT_T0_E_clISt17integral_constantIbLb0EES13_EEDaSY_SZ_EUlSY_E_NS1_11comp_targetILNS1_3genE9ELNS1_11target_archE1100ELNS1_3gpuE3ELNS1_3repE0EEENS1_30default_config_static_selectorELNS0_4arch9wavefront6targetE0EEEvT1_, .Lfunc_end73-_ZN7rocprim17ROCPRIM_400000_NS6detail17trampoline_kernelINS0_14default_configENS1_29reduce_by_key_config_selectorIifN6thrust23THRUST_200600_302600_NS4plusIfEEEEZZNS1_33reduce_by_key_impl_wrapped_configILNS1_25lookback_scan_determinismE0ES3_S9_NS6_6detail15normal_iteratorINS6_10device_ptrIiEEEENSD_INSE_IfEEEESG_SI_PmS8_NS6_8equal_toIiEEEE10hipError_tPvRmT2_T3_mT4_T5_T6_T7_T8_P12ihipStream_tbENKUlT_T0_E_clISt17integral_constantIbLb0EES13_EEDaSY_SZ_EUlSY_E_NS1_11comp_targetILNS1_3genE9ELNS1_11target_archE1100ELNS1_3gpuE3ELNS1_3repE0EEENS1_30default_config_static_selectorELNS0_4arch9wavefront6targetE0EEEvT1_
                                        ; -- End function
	.set _ZN7rocprim17ROCPRIM_400000_NS6detail17trampoline_kernelINS0_14default_configENS1_29reduce_by_key_config_selectorIifN6thrust23THRUST_200600_302600_NS4plusIfEEEEZZNS1_33reduce_by_key_impl_wrapped_configILNS1_25lookback_scan_determinismE0ES3_S9_NS6_6detail15normal_iteratorINS6_10device_ptrIiEEEENSD_INSE_IfEEEESG_SI_PmS8_NS6_8equal_toIiEEEE10hipError_tPvRmT2_T3_mT4_T5_T6_T7_T8_P12ihipStream_tbENKUlT_T0_E_clISt17integral_constantIbLb0EES13_EEDaSY_SZ_EUlSY_E_NS1_11comp_targetILNS1_3genE9ELNS1_11target_archE1100ELNS1_3gpuE3ELNS1_3repE0EEENS1_30default_config_static_selectorELNS0_4arch9wavefront6targetE0EEEvT1_.num_vgpr, 0
	.set _ZN7rocprim17ROCPRIM_400000_NS6detail17trampoline_kernelINS0_14default_configENS1_29reduce_by_key_config_selectorIifN6thrust23THRUST_200600_302600_NS4plusIfEEEEZZNS1_33reduce_by_key_impl_wrapped_configILNS1_25lookback_scan_determinismE0ES3_S9_NS6_6detail15normal_iteratorINS6_10device_ptrIiEEEENSD_INSE_IfEEEESG_SI_PmS8_NS6_8equal_toIiEEEE10hipError_tPvRmT2_T3_mT4_T5_T6_T7_T8_P12ihipStream_tbENKUlT_T0_E_clISt17integral_constantIbLb0EES13_EEDaSY_SZ_EUlSY_E_NS1_11comp_targetILNS1_3genE9ELNS1_11target_archE1100ELNS1_3gpuE3ELNS1_3repE0EEENS1_30default_config_static_selectorELNS0_4arch9wavefront6targetE0EEEvT1_.num_agpr, 0
	.set _ZN7rocprim17ROCPRIM_400000_NS6detail17trampoline_kernelINS0_14default_configENS1_29reduce_by_key_config_selectorIifN6thrust23THRUST_200600_302600_NS4plusIfEEEEZZNS1_33reduce_by_key_impl_wrapped_configILNS1_25lookback_scan_determinismE0ES3_S9_NS6_6detail15normal_iteratorINS6_10device_ptrIiEEEENSD_INSE_IfEEEESG_SI_PmS8_NS6_8equal_toIiEEEE10hipError_tPvRmT2_T3_mT4_T5_T6_T7_T8_P12ihipStream_tbENKUlT_T0_E_clISt17integral_constantIbLb0EES13_EEDaSY_SZ_EUlSY_E_NS1_11comp_targetILNS1_3genE9ELNS1_11target_archE1100ELNS1_3gpuE3ELNS1_3repE0EEENS1_30default_config_static_selectorELNS0_4arch9wavefront6targetE0EEEvT1_.numbered_sgpr, 0
	.set _ZN7rocprim17ROCPRIM_400000_NS6detail17trampoline_kernelINS0_14default_configENS1_29reduce_by_key_config_selectorIifN6thrust23THRUST_200600_302600_NS4plusIfEEEEZZNS1_33reduce_by_key_impl_wrapped_configILNS1_25lookback_scan_determinismE0ES3_S9_NS6_6detail15normal_iteratorINS6_10device_ptrIiEEEENSD_INSE_IfEEEESG_SI_PmS8_NS6_8equal_toIiEEEE10hipError_tPvRmT2_T3_mT4_T5_T6_T7_T8_P12ihipStream_tbENKUlT_T0_E_clISt17integral_constantIbLb0EES13_EEDaSY_SZ_EUlSY_E_NS1_11comp_targetILNS1_3genE9ELNS1_11target_archE1100ELNS1_3gpuE3ELNS1_3repE0EEENS1_30default_config_static_selectorELNS0_4arch9wavefront6targetE0EEEvT1_.num_named_barrier, 0
	.set _ZN7rocprim17ROCPRIM_400000_NS6detail17trampoline_kernelINS0_14default_configENS1_29reduce_by_key_config_selectorIifN6thrust23THRUST_200600_302600_NS4plusIfEEEEZZNS1_33reduce_by_key_impl_wrapped_configILNS1_25lookback_scan_determinismE0ES3_S9_NS6_6detail15normal_iteratorINS6_10device_ptrIiEEEENSD_INSE_IfEEEESG_SI_PmS8_NS6_8equal_toIiEEEE10hipError_tPvRmT2_T3_mT4_T5_T6_T7_T8_P12ihipStream_tbENKUlT_T0_E_clISt17integral_constantIbLb0EES13_EEDaSY_SZ_EUlSY_E_NS1_11comp_targetILNS1_3genE9ELNS1_11target_archE1100ELNS1_3gpuE3ELNS1_3repE0EEENS1_30default_config_static_selectorELNS0_4arch9wavefront6targetE0EEEvT1_.private_seg_size, 0
	.set _ZN7rocprim17ROCPRIM_400000_NS6detail17trampoline_kernelINS0_14default_configENS1_29reduce_by_key_config_selectorIifN6thrust23THRUST_200600_302600_NS4plusIfEEEEZZNS1_33reduce_by_key_impl_wrapped_configILNS1_25lookback_scan_determinismE0ES3_S9_NS6_6detail15normal_iteratorINS6_10device_ptrIiEEEENSD_INSE_IfEEEESG_SI_PmS8_NS6_8equal_toIiEEEE10hipError_tPvRmT2_T3_mT4_T5_T6_T7_T8_P12ihipStream_tbENKUlT_T0_E_clISt17integral_constantIbLb0EES13_EEDaSY_SZ_EUlSY_E_NS1_11comp_targetILNS1_3genE9ELNS1_11target_archE1100ELNS1_3gpuE3ELNS1_3repE0EEENS1_30default_config_static_selectorELNS0_4arch9wavefront6targetE0EEEvT1_.uses_vcc, 0
	.set _ZN7rocprim17ROCPRIM_400000_NS6detail17trampoline_kernelINS0_14default_configENS1_29reduce_by_key_config_selectorIifN6thrust23THRUST_200600_302600_NS4plusIfEEEEZZNS1_33reduce_by_key_impl_wrapped_configILNS1_25lookback_scan_determinismE0ES3_S9_NS6_6detail15normal_iteratorINS6_10device_ptrIiEEEENSD_INSE_IfEEEESG_SI_PmS8_NS6_8equal_toIiEEEE10hipError_tPvRmT2_T3_mT4_T5_T6_T7_T8_P12ihipStream_tbENKUlT_T0_E_clISt17integral_constantIbLb0EES13_EEDaSY_SZ_EUlSY_E_NS1_11comp_targetILNS1_3genE9ELNS1_11target_archE1100ELNS1_3gpuE3ELNS1_3repE0EEENS1_30default_config_static_selectorELNS0_4arch9wavefront6targetE0EEEvT1_.uses_flat_scratch, 0
	.set _ZN7rocprim17ROCPRIM_400000_NS6detail17trampoline_kernelINS0_14default_configENS1_29reduce_by_key_config_selectorIifN6thrust23THRUST_200600_302600_NS4plusIfEEEEZZNS1_33reduce_by_key_impl_wrapped_configILNS1_25lookback_scan_determinismE0ES3_S9_NS6_6detail15normal_iteratorINS6_10device_ptrIiEEEENSD_INSE_IfEEEESG_SI_PmS8_NS6_8equal_toIiEEEE10hipError_tPvRmT2_T3_mT4_T5_T6_T7_T8_P12ihipStream_tbENKUlT_T0_E_clISt17integral_constantIbLb0EES13_EEDaSY_SZ_EUlSY_E_NS1_11comp_targetILNS1_3genE9ELNS1_11target_archE1100ELNS1_3gpuE3ELNS1_3repE0EEENS1_30default_config_static_selectorELNS0_4arch9wavefront6targetE0EEEvT1_.has_dyn_sized_stack, 0
	.set _ZN7rocprim17ROCPRIM_400000_NS6detail17trampoline_kernelINS0_14default_configENS1_29reduce_by_key_config_selectorIifN6thrust23THRUST_200600_302600_NS4plusIfEEEEZZNS1_33reduce_by_key_impl_wrapped_configILNS1_25lookback_scan_determinismE0ES3_S9_NS6_6detail15normal_iteratorINS6_10device_ptrIiEEEENSD_INSE_IfEEEESG_SI_PmS8_NS6_8equal_toIiEEEE10hipError_tPvRmT2_T3_mT4_T5_T6_T7_T8_P12ihipStream_tbENKUlT_T0_E_clISt17integral_constantIbLb0EES13_EEDaSY_SZ_EUlSY_E_NS1_11comp_targetILNS1_3genE9ELNS1_11target_archE1100ELNS1_3gpuE3ELNS1_3repE0EEENS1_30default_config_static_selectorELNS0_4arch9wavefront6targetE0EEEvT1_.has_recursion, 0
	.set _ZN7rocprim17ROCPRIM_400000_NS6detail17trampoline_kernelINS0_14default_configENS1_29reduce_by_key_config_selectorIifN6thrust23THRUST_200600_302600_NS4plusIfEEEEZZNS1_33reduce_by_key_impl_wrapped_configILNS1_25lookback_scan_determinismE0ES3_S9_NS6_6detail15normal_iteratorINS6_10device_ptrIiEEEENSD_INSE_IfEEEESG_SI_PmS8_NS6_8equal_toIiEEEE10hipError_tPvRmT2_T3_mT4_T5_T6_T7_T8_P12ihipStream_tbENKUlT_T0_E_clISt17integral_constantIbLb0EES13_EEDaSY_SZ_EUlSY_E_NS1_11comp_targetILNS1_3genE9ELNS1_11target_archE1100ELNS1_3gpuE3ELNS1_3repE0EEENS1_30default_config_static_selectorELNS0_4arch9wavefront6targetE0EEEvT1_.has_indirect_call, 0
	.section	.AMDGPU.csdata,"",@progbits
; Kernel info:
; codeLenInByte = 0
; TotalNumSgprs: 0
; NumVgprs: 0
; ScratchSize: 0
; MemoryBound: 0
; FloatMode: 240
; IeeeMode: 1
; LDSByteSize: 0 bytes/workgroup (compile time only)
; SGPRBlocks: 0
; VGPRBlocks: 0
; NumSGPRsForWavesPerEU: 1
; NumVGPRsForWavesPerEU: 1
; Occupancy: 16
; WaveLimiterHint : 0
; COMPUTE_PGM_RSRC2:SCRATCH_EN: 0
; COMPUTE_PGM_RSRC2:USER_SGPR: 6
; COMPUTE_PGM_RSRC2:TRAP_HANDLER: 0
; COMPUTE_PGM_RSRC2:TGID_X_EN: 1
; COMPUTE_PGM_RSRC2:TGID_Y_EN: 0
; COMPUTE_PGM_RSRC2:TGID_Z_EN: 0
; COMPUTE_PGM_RSRC2:TIDIG_COMP_CNT: 0
	.section	.text._ZN7rocprim17ROCPRIM_400000_NS6detail17trampoline_kernelINS0_14default_configENS1_29reduce_by_key_config_selectorIifN6thrust23THRUST_200600_302600_NS4plusIfEEEEZZNS1_33reduce_by_key_impl_wrapped_configILNS1_25lookback_scan_determinismE0ES3_S9_NS6_6detail15normal_iteratorINS6_10device_ptrIiEEEENSD_INSE_IfEEEESG_SI_PmS8_NS6_8equal_toIiEEEE10hipError_tPvRmT2_T3_mT4_T5_T6_T7_T8_P12ihipStream_tbENKUlT_T0_E_clISt17integral_constantIbLb0EES13_EEDaSY_SZ_EUlSY_E_NS1_11comp_targetILNS1_3genE8ELNS1_11target_archE1030ELNS1_3gpuE2ELNS1_3repE0EEENS1_30default_config_static_selectorELNS0_4arch9wavefront6targetE0EEEvT1_,"axG",@progbits,_ZN7rocprim17ROCPRIM_400000_NS6detail17trampoline_kernelINS0_14default_configENS1_29reduce_by_key_config_selectorIifN6thrust23THRUST_200600_302600_NS4plusIfEEEEZZNS1_33reduce_by_key_impl_wrapped_configILNS1_25lookback_scan_determinismE0ES3_S9_NS6_6detail15normal_iteratorINS6_10device_ptrIiEEEENSD_INSE_IfEEEESG_SI_PmS8_NS6_8equal_toIiEEEE10hipError_tPvRmT2_T3_mT4_T5_T6_T7_T8_P12ihipStream_tbENKUlT_T0_E_clISt17integral_constantIbLb0EES13_EEDaSY_SZ_EUlSY_E_NS1_11comp_targetILNS1_3genE8ELNS1_11target_archE1030ELNS1_3gpuE2ELNS1_3repE0EEENS1_30default_config_static_selectorELNS0_4arch9wavefront6targetE0EEEvT1_,comdat
	.protected	_ZN7rocprim17ROCPRIM_400000_NS6detail17trampoline_kernelINS0_14default_configENS1_29reduce_by_key_config_selectorIifN6thrust23THRUST_200600_302600_NS4plusIfEEEEZZNS1_33reduce_by_key_impl_wrapped_configILNS1_25lookback_scan_determinismE0ES3_S9_NS6_6detail15normal_iteratorINS6_10device_ptrIiEEEENSD_INSE_IfEEEESG_SI_PmS8_NS6_8equal_toIiEEEE10hipError_tPvRmT2_T3_mT4_T5_T6_T7_T8_P12ihipStream_tbENKUlT_T0_E_clISt17integral_constantIbLb0EES13_EEDaSY_SZ_EUlSY_E_NS1_11comp_targetILNS1_3genE8ELNS1_11target_archE1030ELNS1_3gpuE2ELNS1_3repE0EEENS1_30default_config_static_selectorELNS0_4arch9wavefront6targetE0EEEvT1_ ; -- Begin function _ZN7rocprim17ROCPRIM_400000_NS6detail17trampoline_kernelINS0_14default_configENS1_29reduce_by_key_config_selectorIifN6thrust23THRUST_200600_302600_NS4plusIfEEEEZZNS1_33reduce_by_key_impl_wrapped_configILNS1_25lookback_scan_determinismE0ES3_S9_NS6_6detail15normal_iteratorINS6_10device_ptrIiEEEENSD_INSE_IfEEEESG_SI_PmS8_NS6_8equal_toIiEEEE10hipError_tPvRmT2_T3_mT4_T5_T6_T7_T8_P12ihipStream_tbENKUlT_T0_E_clISt17integral_constantIbLb0EES13_EEDaSY_SZ_EUlSY_E_NS1_11comp_targetILNS1_3genE8ELNS1_11target_archE1030ELNS1_3gpuE2ELNS1_3repE0EEENS1_30default_config_static_selectorELNS0_4arch9wavefront6targetE0EEEvT1_
	.globl	_ZN7rocprim17ROCPRIM_400000_NS6detail17trampoline_kernelINS0_14default_configENS1_29reduce_by_key_config_selectorIifN6thrust23THRUST_200600_302600_NS4plusIfEEEEZZNS1_33reduce_by_key_impl_wrapped_configILNS1_25lookback_scan_determinismE0ES3_S9_NS6_6detail15normal_iteratorINS6_10device_ptrIiEEEENSD_INSE_IfEEEESG_SI_PmS8_NS6_8equal_toIiEEEE10hipError_tPvRmT2_T3_mT4_T5_T6_T7_T8_P12ihipStream_tbENKUlT_T0_E_clISt17integral_constantIbLb0EES13_EEDaSY_SZ_EUlSY_E_NS1_11comp_targetILNS1_3genE8ELNS1_11target_archE1030ELNS1_3gpuE2ELNS1_3repE0EEENS1_30default_config_static_selectorELNS0_4arch9wavefront6targetE0EEEvT1_
	.p2align	8
	.type	_ZN7rocprim17ROCPRIM_400000_NS6detail17trampoline_kernelINS0_14default_configENS1_29reduce_by_key_config_selectorIifN6thrust23THRUST_200600_302600_NS4plusIfEEEEZZNS1_33reduce_by_key_impl_wrapped_configILNS1_25lookback_scan_determinismE0ES3_S9_NS6_6detail15normal_iteratorINS6_10device_ptrIiEEEENSD_INSE_IfEEEESG_SI_PmS8_NS6_8equal_toIiEEEE10hipError_tPvRmT2_T3_mT4_T5_T6_T7_T8_P12ihipStream_tbENKUlT_T0_E_clISt17integral_constantIbLb0EES13_EEDaSY_SZ_EUlSY_E_NS1_11comp_targetILNS1_3genE8ELNS1_11target_archE1030ELNS1_3gpuE2ELNS1_3repE0EEENS1_30default_config_static_selectorELNS0_4arch9wavefront6targetE0EEEvT1_,@function
_ZN7rocprim17ROCPRIM_400000_NS6detail17trampoline_kernelINS0_14default_configENS1_29reduce_by_key_config_selectorIifN6thrust23THRUST_200600_302600_NS4plusIfEEEEZZNS1_33reduce_by_key_impl_wrapped_configILNS1_25lookback_scan_determinismE0ES3_S9_NS6_6detail15normal_iteratorINS6_10device_ptrIiEEEENSD_INSE_IfEEEESG_SI_PmS8_NS6_8equal_toIiEEEE10hipError_tPvRmT2_T3_mT4_T5_T6_T7_T8_P12ihipStream_tbENKUlT_T0_E_clISt17integral_constantIbLb0EES13_EEDaSY_SZ_EUlSY_E_NS1_11comp_targetILNS1_3genE8ELNS1_11target_archE1030ELNS1_3gpuE2ELNS1_3repE0EEENS1_30default_config_static_selectorELNS0_4arch9wavefront6targetE0EEEvT1_: ; @_ZN7rocprim17ROCPRIM_400000_NS6detail17trampoline_kernelINS0_14default_configENS1_29reduce_by_key_config_selectorIifN6thrust23THRUST_200600_302600_NS4plusIfEEEEZZNS1_33reduce_by_key_impl_wrapped_configILNS1_25lookback_scan_determinismE0ES3_S9_NS6_6detail15normal_iteratorINS6_10device_ptrIiEEEENSD_INSE_IfEEEESG_SI_PmS8_NS6_8equal_toIiEEEE10hipError_tPvRmT2_T3_mT4_T5_T6_T7_T8_P12ihipStream_tbENKUlT_T0_E_clISt17integral_constantIbLb0EES13_EEDaSY_SZ_EUlSY_E_NS1_11comp_targetILNS1_3genE8ELNS1_11target_archE1030ELNS1_3gpuE2ELNS1_3repE0EEENS1_30default_config_static_selectorELNS0_4arch9wavefront6targetE0EEEvT1_
; %bb.0:
	s_clause 0x4
	s_load_dwordx8 s[12:19], s[4:5], 0x0
	s_load_dwordx8 s[20:27], s[4:5], 0x38
	s_load_dwordx4 s[28:31], s[4:5], 0x20
	s_load_dwordx2 s[34:35], s[4:5], 0x68
	s_load_dwordx4 s[36:39], s[4:5], 0x58
	s_mov_b32 s1, 0
	s_mul_i32 s0, s6, 0xf00
	s_waitcnt lgkmcnt(0)
	s_lshl_b64 s[2:3], s[14:15], 2
	s_mul_i32 s4, s24, s23
	s_add_u32 s9, s12, s2
	s_mul_hi_u32 s5, s24, s22
	s_addc_u32 s10, s13, s3
	s_add_u32 s11, s16, s2
	s_mul_i32 s7, s25, s22
	s_addc_u32 s12, s17, s3
	s_add_i32 s4, s5, s4
	s_lshl_b64 s[2:3], s[0:1], 2
	s_add_i32 s4, s4, s7
	s_add_u32 s41, s9, s2
	s_addc_u32 s40, s10, s3
	s_mul_i32 s8, s24, s22
	s_add_u32 s24, s11, s2
	s_addc_u32 s25, s12, s3
	s_add_u32 s16, s8, s6
	s_addc_u32 s17, s4, 0
	s_add_u32 s2, s26, -1
	s_addc_u32 s3, s27, -1
	s_mul_i32 s27, s2, 0xfffff100
	s_cmp_eq_u64 s[16:17], s[2:3]
	s_cselect_b32 s26, -1, 0
	s_cmp_lg_u64 s[16:17], s[2:3]
	s_cselect_b32 s15, -1, 0
	s_and_b32 vcc_lo, exec_lo, s26
	s_cbranch_vccnz .LBB74_2
; %bb.1:
	v_lshlrev_b32_e32 v31, 2, v0
	v_add_co_u32 v1, s0, s41, v31
	v_add_co_ci_u32_e64 v2, null, s40, 0, s0
	v_mad_u32_u24 v37, v0, 56, v31
	v_add_co_u32 v3, vcc_lo, 0x800, v1
	v_add_co_ci_u32_e64 v4, null, 0, v2, vcc_lo
	v_add_co_u32 v5, vcc_lo, 0x1000, v1
	v_add_co_ci_u32_e64 v6, null, 0, v2, vcc_lo
	;; [unrolled: 2-line block ×3, first 2 shown]
	s_clause 0x7
	flat_load_dword v17, v[1:2]
	flat_load_dword v18, v[1:2] offset:1024
	flat_load_dword v19, v[3:4]
	flat_load_dword v20, v[3:4] offset:1024
	;; [unrolled: 2-line block ×4, first 2 shown]
	v_add_co_u32 v3, vcc_lo, 0x2000, v1
	v_add_co_ci_u32_e64 v4, null, 0, v2, vcc_lo
	v_add_co_u32 v5, vcc_lo, 0x2800, v1
	v_add_co_ci_u32_e64 v6, null, 0, v2, vcc_lo
	;; [unrolled: 2-line block ×4, first 2 shown]
	s_clause 0x6
	flat_load_dword v25, v[3:4]
	flat_load_dword v26, v[3:4] offset:1024
	flat_load_dword v27, v[5:6]
	flat_load_dword v28, v[5:6] offset:1024
	;; [unrolled: 2-line block ×3, first 2 shown]
	flat_load_dword v32, v[1:2]
	v_add_co_u32 v1, s0, s24, v31
	v_add_co_ci_u32_e64 v2, null, s25, 0, s0
	s_waitcnt vmcnt(13) lgkmcnt(13)
	ds_write2st64_b32 v31, v17, v18 offset1:4
	s_waitcnt vmcnt(11) lgkmcnt(12)
	ds_write2st64_b32 v31, v19, v20 offset0:8 offset1:12
	s_waitcnt vmcnt(9) lgkmcnt(11)
	ds_write2st64_b32 v31, v21, v22 offset0:16 offset1:20
	;; [unrolled: 2-line block ×6, first 2 shown]
	s_waitcnt vmcnt(0) lgkmcnt(7)
	ds_write_b32 v31, v32 offset:14336
	v_add_co_u32 v3, vcc_lo, 0x800, v1
	v_add_co_ci_u32_e64 v4, null, 0, v2, vcc_lo
	v_add_co_u32 v5, vcc_lo, 0x1000, v1
	v_add_co_ci_u32_e64 v6, null, 0, v2, vcc_lo
	;; [unrolled: 2-line block ×7, first 2 shown]
	s_waitcnt lgkmcnt(0)
	s_barrier
	buffer_gl0_inv
	ds_read2_b32 v[29:30], v37 offset1:1
	ds_read2_b32 v[27:28], v37 offset0:2 offset1:3
	ds_read2_b32 v[25:26], v37 offset0:4 offset1:5
	;; [unrolled: 1-line block ×6, first 2 shown]
	ds_read_b32 v58, v37 offset:56
	s_waitcnt lgkmcnt(0)
	s_barrier
	buffer_gl0_inv
	s_clause 0xe
	flat_load_dword v32, v[1:2]
	flat_load_dword v1, v[1:2] offset:1024
	flat_load_dword v2, v[3:4]
	flat_load_dword v3, v[3:4] offset:1024
	;; [unrolled: 2-line block ×7, first 2 shown]
	flat_load_dword v14, v[15:16]
	s_waitcnt vmcnt(13) lgkmcnt(13)
	ds_write2st64_b32 v31, v32, v1 offset1:4
	s_waitcnt vmcnt(11) lgkmcnt(12)
	ds_write2st64_b32 v31, v2, v3 offset0:8 offset1:12
	s_waitcnt vmcnt(9) lgkmcnt(11)
	ds_write2st64_b32 v31, v4, v5 offset0:16 offset1:20
	;; [unrolled: 2-line block ×6, first 2 shown]
	s_waitcnt vmcnt(0) lgkmcnt(7)
	ds_write_b32 v31, v14 offset:14336
	s_waitcnt lgkmcnt(0)
	s_barrier
	buffer_gl0_inv
	ds_read2_b32 v[13:14], v37 offset1:1
	ds_read2_b32 v[15:16], v37 offset0:2 offset1:3
	ds_read2_b32 v[31:32], v37 offset0:4 offset1:5
	;; [unrolled: 1-line block ×6, first 2 shown]
	ds_read_b32 v65, v37 offset:56
	s_andn2_b32 vcc_lo, exec_lo, s1
	s_add_i32 s27, s27, s36
	s_cbranch_vccz .LBB74_3
	s_branch .LBB74_50
.LBB74_2:
                                        ; implicit-def: $vgpr65
                                        ; implicit-def: $vgpr10
                                        ; implicit-def: $vgpr12
                                        ; implicit-def: $vgpr36
                                        ; implicit-def: $vgpr34
                                        ; implicit-def: $vgpr32
                                        ; implicit-def: $vgpr16
                                        ; implicit-def: $vgpr14
                                        ; implicit-def: $vgpr29
                                        ; implicit-def: $vgpr27
                                        ; implicit-def: $vgpr25
                                        ; implicit-def: $vgpr23
                                        ; implicit-def: $vgpr21
                                        ; implicit-def: $vgpr19
                                        ; implicit-def: $vgpr17
                                        ; implicit-def: $vgpr58
	s_add_i32 s27, s27, s36
.LBB74_3:
	v_cmp_gt_u32_e64 s14, s27, v0
                                        ; implicit-def: $vgpr1
	s_and_saveexec_b32 s0, s14
	s_cbranch_execz .LBB74_5
; %bb.4:
	v_lshlrev_b32_e32 v1, 2, v0
	v_add_co_u32 v1, s1, s41, v1
	v_add_co_ci_u32_e64 v2, null, s40, 0, s1
	flat_load_dword v1, v[1:2]
.LBB74_5:
	s_or_b32 exec_lo, exec_lo, s0
	v_or_b32_e32 v2, 0x100, v0
	v_cmp_gt_u32_e64 s13, s27, v2
                                        ; implicit-def: $vgpr2
	s_and_saveexec_b32 s0, s13
	s_cbranch_execz .LBB74_7
; %bb.6:
	v_lshlrev_b32_e32 v2, 2, v0
	v_add_co_u32 v2, s1, s41, v2
	v_add_co_ci_u32_e64 v3, null, s40, 0, s1
	flat_load_dword v2, v[2:3] offset:1024
.LBB74_7:
	s_or_b32 exec_lo, exec_lo, s0
	v_or_b32_e32 v3, 0x200, v0
	v_cmp_gt_u32_e64 s12, s27, v3
	v_lshlrev_b32_e32 v44, 2, v3
                                        ; implicit-def: $vgpr3
	s_and_saveexec_b32 s0, s12
	s_cbranch_execz .LBB74_9
; %bb.8:
	v_add_co_u32 v3, s1, s41, v44
	v_add_co_ci_u32_e64 v4, null, s40, 0, s1
	flat_load_dword v3, v[3:4]
.LBB74_9:
	s_or_b32 exec_lo, exec_lo, s0
	v_or_b32_e32 v4, 0x300, v0
	v_cmp_gt_u32_e64 s11, s27, v4
	v_lshlrev_b32_e32 v43, 2, v4
                                        ; implicit-def: $vgpr4
	s_and_saveexec_b32 s0, s11
	s_cbranch_execz .LBB74_11
; %bb.10:
	v_add_co_u32 v4, s1, s41, v43
	v_add_co_ci_u32_e64 v5, null, s40, 0, s1
	flat_load_dword v4, v[4:5]
.LBB74_11:
	s_or_b32 exec_lo, exec_lo, s0
	v_or_b32_e32 v5, 0x400, v0
	v_cmp_gt_u32_e64 s10, s27, v5
	v_lshlrev_b32_e32 v42, 2, v5
                                        ; implicit-def: $vgpr5
	s_and_saveexec_b32 s0, s10
	s_cbranch_execz .LBB74_13
; %bb.12:
	v_add_co_u32 v5, s1, s41, v42
	v_add_co_ci_u32_e64 v6, null, s40, 0, s1
	flat_load_dword v5, v[5:6]
.LBB74_13:
	s_or_b32 exec_lo, exec_lo, s0
	v_or_b32_e32 v6, 0x500, v0
	v_cmp_gt_u32_e64 s9, s27, v6
	v_lshlrev_b32_e32 v41, 2, v6
                                        ; implicit-def: $vgpr6
	s_and_saveexec_b32 s0, s9
	s_cbranch_execz .LBB74_15
; %bb.14:
	v_add_co_u32 v6, s1, s41, v41
	v_add_co_ci_u32_e64 v7, null, s40, 0, s1
	flat_load_dword v6, v[6:7]
.LBB74_15:
	s_or_b32 exec_lo, exec_lo, s0
	v_or_b32_e32 v7, 0x600, v0
	v_cmp_gt_u32_e64 s8, s27, v7
	v_lshlrev_b32_e32 v40, 2, v7
                                        ; implicit-def: $vgpr7
	s_and_saveexec_b32 s0, s8
	s_cbranch_execz .LBB74_17
; %bb.16:
	v_add_co_u32 v7, s1, s41, v40
	v_add_co_ci_u32_e64 v8, null, s40, 0, s1
	flat_load_dword v7, v[7:8]
.LBB74_17:
	s_or_b32 exec_lo, exec_lo, s0
	v_or_b32_e32 v8, 0x700, v0
	v_cmp_gt_u32_e64 s7, s27, v8
	v_lshlrev_b32_e32 v39, 2, v8
                                        ; implicit-def: $vgpr8
	s_and_saveexec_b32 s0, s7
	s_cbranch_execz .LBB74_19
; %bb.18:
	v_add_co_u32 v8, s1, s41, v39
	s_waitcnt lgkmcnt(1)
	v_add_co_ci_u32_e64 v9, null, s40, 0, s1
	flat_load_dword v8, v[8:9]
.LBB74_19:
	s_or_b32 exec_lo, exec_lo, s0
	s_waitcnt lgkmcnt(1)
	v_or_b32_e32 v9, 0x800, v0
	v_cmp_gt_u32_e64 s5, s27, v9
	v_lshlrev_b32_e32 v38, 2, v9
                                        ; implicit-def: $vgpr9
	s_and_saveexec_b32 s0, s5
	s_cbranch_execz .LBB74_21
; %bb.20:
	v_add_co_u32 v9, s1, s41, v38
	v_add_co_ci_u32_e64 v10, null, s40, 0, s1
	flat_load_dword v9, v[9:10]
.LBB74_21:
	s_or_b32 exec_lo, exec_lo, s0
	v_or_b32_e32 v10, 0x900, v0
	v_cmp_gt_u32_e64 s4, s27, v10
	v_lshlrev_b32_e32 v37, 2, v10
                                        ; implicit-def: $vgpr10
	s_and_saveexec_b32 s0, s4
	s_cbranch_execz .LBB74_23
; %bb.22:
	v_add_co_u32 v10, s1, s41, v37
	v_add_co_ci_u32_e64 v11, null, s40, 0, s1
	flat_load_dword v10, v[10:11]
.LBB74_23:
	s_or_b32 exec_lo, exec_lo, s0
	v_or_b32_e32 v11, 0xa00, v0
	v_cmp_gt_u32_e64 s3, s27, v11
	v_lshlrev_b32_e32 v36, 2, v11
                                        ; implicit-def: $vgpr11
	s_and_saveexec_b32 s0, s3
	s_cbranch_execz .LBB74_25
; %bb.24:
	v_add_co_u32 v11, s1, s41, v36
	v_add_co_ci_u32_e64 v12, null, s40, 0, s1
	flat_load_dword v11, v[11:12]
.LBB74_25:
	s_or_b32 exec_lo, exec_lo, s0
	v_or_b32_e32 v12, 0xb00, v0
	v_cmp_gt_u32_e64 s2, s27, v12
	v_lshlrev_b32_e32 v35, 2, v12
                                        ; implicit-def: $vgpr12
	s_and_saveexec_b32 s0, s2
	s_cbranch_execz .LBB74_27
; %bb.26:
	v_add_co_u32 v12, s1, s41, v35
	v_add_co_ci_u32_e64 v13, null, s40, 0, s1
	flat_load_dword v12, v[12:13]
.LBB74_27:
	s_or_b32 exec_lo, exec_lo, s0
	v_or_b32_e32 v13, 0xc00, v0
	v_cmp_gt_u32_e64 s1, s27, v13
	v_lshlrev_b32_e32 v34, 2, v13
                                        ; implicit-def: $vgpr13
	s_and_saveexec_b32 s0, s1
	s_cbranch_execz .LBB74_29
; %bb.28:
	v_add_co_u32 v13, s33, s41, v34
	v_add_co_ci_u32_e64 v14, null, s40, 0, s33
	flat_load_dword v13, v[13:14]
.LBB74_29:
	s_or_b32 exec_lo, exec_lo, s0
	v_or_b32_e32 v14, 0xd00, v0
	v_cmp_gt_u32_e64 s0, s27, v14
	v_lshlrev_b32_e32 v33, 2, v14
                                        ; implicit-def: $vgpr14
	s_and_saveexec_b32 s33, s0
	s_cbranch_execz .LBB74_31
; %bb.30:
	v_add_co_u32 v14, s42, s41, v33
	v_add_co_ci_u32_e64 v15, null, s40, 0, s42
	flat_load_dword v14, v[14:15]
.LBB74_31:
	s_or_b32 exec_lo, exec_lo, s33
	v_or_b32_e32 v15, 0xe00, v0
	v_cmp_gt_u32_e32 vcc_lo, s27, v15
	v_lshlrev_b32_e32 v32, 2, v15
                                        ; implicit-def: $vgpr15
	s_and_saveexec_b32 s33, vcc_lo
	s_cbranch_execz .LBB74_33
; %bb.32:
	v_add_co_u32 v15, s42, s41, v32
	v_add_co_ci_u32_e64 v16, null, s40, 0, s42
	flat_load_dword v15, v[15:16]
.LBB74_33:
	s_or_b32 exec_lo, exec_lo, s33
	v_lshlrev_b32_e32 v31, 2, v0
	s_waitcnt vmcnt(0) lgkmcnt(0)
	ds_write2st64_b32 v31, v1, v2 offset1:4
	ds_write2st64_b32 v31, v3, v4 offset0:8 offset1:12
	ds_write2st64_b32 v31, v5, v6 offset0:16 offset1:20
	;; [unrolled: 1-line block ×6, first 2 shown]
	v_mad_u32_u24 v2, v0, 56, v31
	ds_write_b32 v31, v15 offset:14336
	s_waitcnt lgkmcnt(0)
	s_barrier
	buffer_gl0_inv
	ds_read2_b32 v[29:30], v2 offset1:1
	ds_read2_b32 v[27:28], v2 offset0:2 offset1:3
	ds_read2_b32 v[25:26], v2 offset0:4 offset1:5
	;; [unrolled: 1-line block ×6, first 2 shown]
	ds_read_b32 v58, v2 offset:56
	v_mov_b32_e32 v1, 0
	s_waitcnt lgkmcnt(0)
	s_barrier
	buffer_gl0_inv
	v_mov_b32_e32 v2, v1
	v_mov_b32_e32 v3, v1
	;; [unrolled: 1-line block ×14, first 2 shown]
	s_and_saveexec_b32 s33, s14
	s_cbranch_execnz .LBB74_56
; %bb.34:
	s_or_b32 exec_lo, exec_lo, s33
	s_and_saveexec_b32 s14, s13
	s_cbranch_execnz .LBB74_57
.LBB74_35:
	s_or_b32 exec_lo, exec_lo, s14
	s_and_saveexec_b32 s13, s12
	s_cbranch_execnz .LBB74_58
.LBB74_36:
	s_or_b32 exec_lo, exec_lo, s13
	s_and_saveexec_b32 s12, s11
	s_cbranch_execnz .LBB74_59
.LBB74_37:
	s_or_b32 exec_lo, exec_lo, s12
	s_and_saveexec_b32 s11, s10
	s_cbranch_execnz .LBB74_60
.LBB74_38:
	s_or_b32 exec_lo, exec_lo, s11
	s_and_saveexec_b32 s10, s9
	s_cbranch_execnz .LBB74_61
.LBB74_39:
	s_or_b32 exec_lo, exec_lo, s10
	s_and_saveexec_b32 s9, s8
	s_cbranch_execnz .LBB74_62
.LBB74_40:
	s_or_b32 exec_lo, exec_lo, s9
	s_and_saveexec_b32 s8, s7
	s_cbranch_execnz .LBB74_63
.LBB74_41:
	s_or_b32 exec_lo, exec_lo, s8
	s_and_saveexec_b32 s7, s5
	s_cbranch_execnz .LBB74_64
.LBB74_42:
	s_or_b32 exec_lo, exec_lo, s7
	s_and_saveexec_b32 s5, s4
	s_cbranch_execnz .LBB74_65
.LBB74_43:
	s_or_b32 exec_lo, exec_lo, s5
	s_and_saveexec_b32 s4, s3
	s_cbranch_execnz .LBB74_66
.LBB74_44:
	s_or_b32 exec_lo, exec_lo, s4
	s_and_saveexec_b32 s3, s2
	s_cbranch_execnz .LBB74_67
.LBB74_45:
	s_or_b32 exec_lo, exec_lo, s3
	s_and_saveexec_b32 s2, s1
	s_cbranch_execnz .LBB74_68
.LBB74_46:
	s_or_b32 exec_lo, exec_lo, s2
	s_and_saveexec_b32 s1, s0
	s_cbranch_execnz .LBB74_69
.LBB74_47:
	s_or_b32 exec_lo, exec_lo, s1
	v_mul_u32_u24_e32 v16, 56, v0
	s_and_saveexec_b32 s0, vcc_lo
	s_cbranch_execz .LBB74_49
.LBB74_48:
	v_add_co_u32 v32, s1, s24, v32
	v_add_co_ci_u32_e64 v33, null, s25, 0, s1
	flat_load_dword v15, v[32:33]
.LBB74_49:
	s_or_b32 exec_lo, exec_lo, s0
	s_waitcnt vmcnt(0) lgkmcnt(0)
	ds_write2st64_b32 v31, v1, v2 offset1:4
	ds_write2st64_b32 v31, v3, v4 offset0:8 offset1:12
	ds_write2st64_b32 v31, v5, v6 offset0:16 offset1:20
	;; [unrolled: 1-line block ×6, first 2 shown]
	v_add_nc_u32_e32 v1, v31, v16
	ds_write_b32 v31, v15 offset:14336
	s_waitcnt lgkmcnt(0)
	s_barrier
	buffer_gl0_inv
	ds_read2_b32 v[13:14], v1 offset1:1
	ds_read2_b32 v[15:16], v1 offset0:2 offset1:3
	ds_read2_b32 v[31:32], v1 offset0:4 offset1:5
	;; [unrolled: 1-line block ×6, first 2 shown]
	ds_read_b32 v65, v1 offset:56
.LBB74_50:
	s_cmp_eq_u64 s[16:17], 0
	s_waitcnt lgkmcnt(0)
	s_cselect_b32 s33, -1, 0
	s_cmp_lg_u64 s[16:17], 0
	s_barrier
	s_cselect_b32 s43, -1, 0
	s_and_b32 vcc_lo, exec_lo, s15
	buffer_gl0_inv
	s_cbranch_vccz .LBB74_55
; %bb.51:
	s_and_b32 vcc_lo, exec_lo, s43
	s_cbranch_vccz .LBB74_70
; %bb.52:
	v_add_co_u32 v1, s0, -4, s41
	v_add_co_ci_u32_e64 v2, null, -1, s40, s0
	v_cmp_ne_u32_e64 s0, v17, v18
	v_cmp_ne_u32_e64 s1, v20, v17
	;; [unrolled: 1-line block ×3, first 2 shown]
	flat_load_dword v1, v[1:2]
	v_lshlrev_b32_e32 v2, 2, v0
	v_cmp_ne_u32_e64 s3, v22, v19
	v_cmp_ne_u32_e64 s4, v21, v22
	;; [unrolled: 1-line block ×10, first 2 shown]
	s_mov_b32 s42, -1
	s_mov_b32 s24, 0
	s_mov_b32 s15, exec_lo
	ds_write_b32 v2, v58
	v_cmp_ne_u32_e32 vcc_lo, v18, v58
	s_waitcnt vmcnt(0) lgkmcnt(0)
	s_barrier
	buffer_gl0_inv
	v_cmpx_ne_u32_e32 0, v0
; %bb.53:
	v_add_nc_u32_e32 v1, -4, v2
	ds_read_b32 v1, v1
; %bb.54:
	s_or_b32 exec_lo, exec_lo, s15
	v_cndmask_b32_e64 v61, 0, 1, vcc_lo
	v_cndmask_b32_e64 v44, 0, 1, s0
	v_cndmask_b32_e64 v46, 0, 1, s1
	;; [unrolled: 1-line block ×13, first 2 shown]
	s_waitcnt lgkmcnt(0)
	v_cmp_ne_u32_e64 s15, v1, v29
	s_and_b32 vcc_lo, exec_lo, s24
	s_cbranch_vccnz .LBB74_71
	s_branch .LBB74_74
.LBB74_55:
	s_mov_b32 s42, 0
                                        ; implicit-def: $sgpr15
                                        ; implicit-def: $vgpr61
                                        ; implicit-def: $vgpr44
                                        ; implicit-def: $vgpr46
                                        ; implicit-def: $vgpr48
                                        ; implicit-def: $vgpr50
                                        ; implicit-def: $vgpr52
                                        ; implicit-def: $vgpr54
                                        ; implicit-def: $vgpr59
                                        ; implicit-def: $vgpr60
                                        ; implicit-def: $vgpr62
                                        ; implicit-def: $vgpr63
                                        ; implicit-def: $vgpr64
                                        ; implicit-def: $vgpr56
                                        ; implicit-def: $vgpr57
	s_cbranch_execnz .LBB74_75
	s_branch .LBB74_83
.LBB74_56:
	v_add_co_u32 v2, s14, s24, v31
	v_add_co_ci_u32_e64 v3, null, s25, 0, s14
	v_mov_b32_e32 v4, v1
	v_mov_b32_e32 v5, v1
	;; [unrolled: 1-line block ×3, first 2 shown]
	flat_load_dword v2, v[2:3]
	v_mov_b32_e32 v3, v1
	v_mov_b32_e32 v7, v1
	;; [unrolled: 1-line block ×11, first 2 shown]
	s_waitcnt vmcnt(0) lgkmcnt(0)
	v_mov_b32_e32 v1, v2
	v_mov_b32_e32 v2, v3
	;; [unrolled: 1-line block ×16, first 2 shown]
	s_or_b32 exec_lo, exec_lo, s33
	s_and_saveexec_b32 s14, s13
	s_cbranch_execz .LBB74_35
.LBB74_57:
	v_add_co_u32 v45, s13, s24, v31
	v_add_co_ci_u32_e64 v46, null, s25, 0, s13
	flat_load_dword v2, v[45:46] offset:1024
	s_or_b32 exec_lo, exec_lo, s14
	s_and_saveexec_b32 s13, s12
	s_cbranch_execz .LBB74_36
.LBB74_58:
	v_add_co_u32 v44, s12, s24, v44
	v_add_co_ci_u32_e64 v45, null, s25, 0, s12
	flat_load_dword v3, v[44:45]
	s_or_b32 exec_lo, exec_lo, s13
	s_and_saveexec_b32 s12, s11
	s_cbranch_execz .LBB74_37
.LBB74_59:
	v_add_co_u32 v43, s11, s24, v43
	v_add_co_ci_u32_e64 v44, null, s25, 0, s11
	flat_load_dword v4, v[43:44]
	s_or_b32 exec_lo, exec_lo, s12
	s_and_saveexec_b32 s11, s10
	s_cbranch_execz .LBB74_38
.LBB74_60:
	v_add_co_u32 v42, s10, s24, v42
	v_add_co_ci_u32_e64 v43, null, s25, 0, s10
	flat_load_dword v5, v[42:43]
	s_or_b32 exec_lo, exec_lo, s11
	s_and_saveexec_b32 s10, s9
	s_cbranch_execz .LBB74_39
.LBB74_61:
	v_add_co_u32 v41, s9, s24, v41
	v_add_co_ci_u32_e64 v42, null, s25, 0, s9
	flat_load_dword v6, v[41:42]
	s_or_b32 exec_lo, exec_lo, s10
	s_and_saveexec_b32 s9, s8
	s_cbranch_execz .LBB74_40
.LBB74_62:
	v_add_co_u32 v40, s8, s24, v40
	v_add_co_ci_u32_e64 v41, null, s25, 0, s8
	flat_load_dword v7, v[40:41]
	s_or_b32 exec_lo, exec_lo, s9
	s_and_saveexec_b32 s8, s7
	s_cbranch_execz .LBB74_41
.LBB74_63:
	v_add_co_u32 v39, s7, s24, v39
	v_add_co_ci_u32_e64 v40, null, s25, 0, s7
	flat_load_dword v8, v[39:40]
	s_or_b32 exec_lo, exec_lo, s8
	s_and_saveexec_b32 s7, s5
	s_cbranch_execz .LBB74_42
.LBB74_64:
	v_add_co_u32 v38, s5, s24, v38
	v_add_co_ci_u32_e64 v39, null, s25, 0, s5
	flat_load_dword v9, v[38:39]
	s_or_b32 exec_lo, exec_lo, s7
	s_and_saveexec_b32 s5, s4
	s_cbranch_execz .LBB74_43
.LBB74_65:
	v_add_co_u32 v37, s4, s24, v37
	v_add_co_ci_u32_e64 v38, null, s25, 0, s4
	flat_load_dword v10, v[37:38]
	s_or_b32 exec_lo, exec_lo, s5
	s_and_saveexec_b32 s4, s3
	s_cbranch_execz .LBB74_44
.LBB74_66:
	v_add_co_u32 v36, s3, s24, v36
	v_add_co_ci_u32_e64 v37, null, s25, 0, s3
	flat_load_dword v11, v[36:37]
	s_or_b32 exec_lo, exec_lo, s4
	s_and_saveexec_b32 s3, s2
	s_cbranch_execz .LBB74_45
.LBB74_67:
	v_add_co_u32 v35, s2, s24, v35
	v_add_co_ci_u32_e64 v36, null, s25, 0, s2
	flat_load_dword v12, v[35:36]
	s_or_b32 exec_lo, exec_lo, s3
	s_and_saveexec_b32 s2, s1
	s_cbranch_execz .LBB74_46
.LBB74_68:
	v_add_co_u32 v34, s1, s24, v34
	v_add_co_ci_u32_e64 v35, null, s25, 0, s1
	flat_load_dword v13, v[34:35]
	s_or_b32 exec_lo, exec_lo, s2
	s_and_saveexec_b32 s1, s0
	s_cbranch_execz .LBB74_47
.LBB74_69:
	v_add_co_u32 v33, s0, s24, v33
	v_add_co_ci_u32_e64 v34, null, s25, 0, s0
	flat_load_dword v14, v[33:34]
	s_or_b32 exec_lo, exec_lo, s1
	v_mul_u32_u24_e32 v16, 56, v0
	s_and_saveexec_b32 s0, vcc_lo
	s_cbranch_execnz .LBB74_48
	s_branch .LBB74_49
.LBB74_70:
	s_mov_b32 s42, 0
                                        ; implicit-def: $sgpr15
                                        ; implicit-def: $vgpr61
                                        ; implicit-def: $vgpr44
                                        ; implicit-def: $vgpr46
                                        ; implicit-def: $vgpr48
                                        ; implicit-def: $vgpr50
                                        ; implicit-def: $vgpr52
                                        ; implicit-def: $vgpr54
                                        ; implicit-def: $vgpr59
                                        ; implicit-def: $vgpr60
                                        ; implicit-def: $vgpr62
                                        ; implicit-def: $vgpr63
                                        ; implicit-def: $vgpr64
                                        ; implicit-def: $vgpr56
                                        ; implicit-def: $vgpr57
	s_cbranch_execz .LBB74_74
.LBB74_71:
	v_lshlrev_b32_e32 v1, 2, v0
	v_cmp_ne_u32_e64 s0, v17, v18
	v_cmp_ne_u32_e64 s1, v20, v17
	;; [unrolled: 1-line block ×14, first 2 shown]
	v_cmp_ne_u32_e32 vcc_lo, v18, v58
	ds_write_b32 v1, v58
	s_waitcnt lgkmcnt(0)
	s_barrier
	buffer_gl0_inv
                                        ; implicit-def: $sgpr15
	s_and_saveexec_b32 s24, s14
	s_xor_b32 s14, exec_lo, s24
	s_cbranch_execz .LBB74_73
; %bb.72:
	v_add_nc_u32_e32 v1, -4, v1
	s_or_b32 s42, s42, exec_lo
	ds_read_b32 v1, v1
	s_waitcnt lgkmcnt(0)
	v_cmp_ne_u32_e64 s15, v1, v29
.LBB74_73:
	s_or_b32 exec_lo, exec_lo, s14
	v_cndmask_b32_e64 v61, 0, 1, vcc_lo
	v_cndmask_b32_e64 v44, 0, 1, s0
	v_cndmask_b32_e64 v46, 0, 1, s1
	;; [unrolled: 1-line block ×13, first 2 shown]
.LBB74_74:
	s_branch .LBB74_83
.LBB74_75:
	s_mul_hi_u32 s0, s16, 0xfffff100
	s_mul_i32 s1, s17, 0xfffff100
	s_sub_i32 s0, s0, s16
	s_mul_i32 s2, s16, 0xfffff100
	s_add_i32 s0, s0, s1
	s_add_u32 s24, s2, s36
	s_addc_u32 s25, s0, s37
	v_cmp_ne_u32_e64 s14, v18, v58
	v_cmp_ne_u32_e64 s15, v17, v18
	;; [unrolled: 1-line block ×14, first 2 shown]
	v_mad_u32_u24 v1, v0, 15, 14
	v_mad_u32_u24 v55, v0, 15, 13
	;; [unrolled: 1-line block ×14, first 2 shown]
	v_cmp_ne_u32_e64 s7, 0, v0
	s_and_b32 vcc_lo, exec_lo, s43
	s_cbranch_vccz .LBB74_79
; %bb.76:
	v_add_co_u32 v56, s16, -4, s41
	v_add_co_ci_u32_e64 v57, null, -1, s40, s16
	v_mov_b32_e32 v2, 0
	s_mov_b32 s42, -1
	flat_load_dword v66, v[56:57]
	v_lshlrev_b32_e32 v57, 2, v0
	v_cmp_gt_u64_e32 vcc_lo, s[24:25], v[1:2]
	v_mov_b32_e32 v56, v2
	v_mov_b32_e32 v54, v2
	;; [unrolled: 1-line block ×5, first 2 shown]
	v_cmp_gt_u64_e64 s16, s[24:25], v[55:56]
	s_and_b32 s17, vcc_lo, s14
	v_cmp_gt_u64_e32 vcc_lo, s[24:25], v[53:54]
	v_mov_b32_e32 v46, v2
	v_mov_b32_e32 v44, v2
	v_cmp_gt_u64_e64 s14, s[24:25], v[51:52]
	s_and_b32 s36, s16, s15
	v_mov_b32_e32 v42, v2
	s_and_b32 s37, vcc_lo, s13
	v_cmp_gt_u64_e32 vcc_lo, s[24:25], v[49:50]
	v_cmp_gt_u64_e64 s13, s[24:25], v[47:48]
	v_cmp_gt_u64_e64 s15, s[24:25], v[45:46]
	;; [unrolled: 1-line block ×3, first 2 shown]
	v_mov_b32_e32 v40, v2
	v_mov_b32_e32 v38, v2
	;; [unrolled: 1-line block ×5, first 2 shown]
	s_and_b32 s14, s14, s12
	s_and_b32 s40, vcc_lo, s8
	s_and_b32 s13, s13, s9
	s_and_b32 s15, s15, s10
	;; [unrolled: 1-line block ×3, first 2 shown]
	v_cmp_gt_u64_e32 vcc_lo, s[24:25], v[41:42]
	v_cmp_gt_u64_e64 s8, s[24:25], v[39:40]
	v_cmp_gt_u64_e64 s9, s[24:25], v[37:38]
	v_cmp_gt_u64_e64 s10, s[24:25], v[7:8]
	v_cmp_gt_u64_e64 s11, s[24:25], v[5:6]
	v_cmp_gt_u64_e64 s12, s[24:25], v[3:4]
	v_mul_u32_u24_e32 v56, 15, v0
	s_and_b32 s0, vcc_lo, s0
	s_and_b32 s8, s8, s1
	s_and_b32 s9, s9, s2
	;; [unrolled: 1-line block ×5, first 2 shown]
	s_mov_b32 s1, 0
	ds_write_b32 v57, v58
	s_waitcnt vmcnt(0) lgkmcnt(0)
	s_barrier
	buffer_gl0_inv
	s_and_saveexec_b32 s4, s7
; %bb.77:
	v_add_nc_u32_e32 v4, -4, v57
	ds_read_b32 v66, v4
; %bb.78:
	s_or_b32 exec_lo, exec_lo, s4
	v_mov_b32_e32 v57, v2
	v_cndmask_b32_e64 v60, 0, 1, s0
	s_waitcnt lgkmcnt(0)
	v_cmp_ne_u32_e64 s0, v66, v29
	v_cndmask_b32_e64 v61, 0, 1, s17
	v_cndmask_b32_e64 v44, 0, 1, s36
	v_cmp_gt_u64_e32 vcc_lo, s[24:25], v[56:57]
	v_cndmask_b32_e64 v46, 0, 1, s37
	v_cndmask_b32_e64 v48, 0, 1, s14
	;; [unrolled: 1-line block ×11, first 2 shown]
	s_and_b32 s15, vcc_lo, s0
	s_and_b32 vcc_lo, exec_lo, s1
	s_cbranch_vccnz .LBB74_80
	s_branch .LBB74_83
.LBB74_79:
                                        ; implicit-def: $sgpr15
                                        ; implicit-def: $vgpr61
                                        ; implicit-def: $vgpr44
                                        ; implicit-def: $vgpr46
                                        ; implicit-def: $vgpr48
                                        ; implicit-def: $vgpr50
                                        ; implicit-def: $vgpr52
                                        ; implicit-def: $vgpr54
                                        ; implicit-def: $vgpr59
                                        ; implicit-def: $vgpr60
                                        ; implicit-def: $vgpr62
                                        ; implicit-def: $vgpr63
                                        ; implicit-def: $vgpr64
                                        ; implicit-def: $vgpr56
                                        ; implicit-def: $vgpr57
	s_cbranch_execz .LBB74_83
.LBB74_80:
	v_mov_b32_e32 v2, 0
	v_cmp_ne_u32_e64 s0, v17, v18
	v_cmp_ne_u32_e32 vcc_lo, v18, v58
	v_cmp_ne_u32_e64 s1, v20, v17
	v_cmp_ne_u32_e64 s7, v21, v22
	v_mov_b32_e32 v56, v2
	v_cmp_gt_u64_e64 s2, s[24:25], v[1:2]
	v_mov_b32_e32 v54, v2
	v_mov_b32_e32 v52, v2
	;; [unrolled: 1-line block ×3, first 2 shown]
	v_cmp_gt_u64_e64 s3, s[24:25], v[55:56]
	v_mov_b32_e32 v50, v2
	v_cmp_gt_u64_e64 s4, s[24:25], v[53:54]
	v_cmp_gt_u64_e64 s5, s[24:25], v[51:52]
	s_and_b32 s8, s2, vcc_lo
	v_cmp_ne_u32_e32 vcc_lo, v19, v20
	s_and_b32 s9, s3, s0
	v_cmp_gt_u64_e64 s3, s[24:25], v[47:48]
	v_cmp_gt_u64_e64 s0, s[24:25], v[49:50]
	v_mov_b32_e32 v46, v2
	v_mov_b32_e32 v44, v2
	;; [unrolled: 1-line block ×4, first 2 shown]
	v_cmp_ne_u32_e64 s2, v22, v19
	s_and_b32 s10, s4, s1
	s_and_b32 s11, s5, vcc_lo
	s_and_b32 s13, s3, s7
	v_cmp_gt_u64_e32 vcc_lo, s[24:25], v[45:46]
	v_cmp_gt_u64_e64 s1, s[24:25], v[43:44]
	v_cmp_gt_u64_e64 s3, s[24:25], v[41:42]
	;; [unrolled: 1-line block ×3, first 2 shown]
	s_and_b32 s12, s0, s2
	v_cmp_ne_u32_e64 s0, v24, v21
	v_cmp_ne_u32_e64 s2, v23, v24
	;; [unrolled: 1-line block ×4, first 2 shown]
	v_mov_b32_e32 v38, v2
	v_mov_b32_e32 v8, v2
	v_mov_b32_e32 v6, v2
	v_mov_b32_e32 v4, v2
	s_and_b32 s14, vcc_lo, s0
	s_and_b32 s16, s1, s2
	s_and_b32 s17, s3, s4
	;; [unrolled: 1-line block ×3, first 2 shown]
	v_cmp_gt_u64_e32 vcc_lo, s[24:25], v[37:38]
	v_cmp_gt_u64_e64 s1, s[24:25], v[7:8]
	v_cmp_gt_u64_e64 s3, s[24:25], v[5:6]
	;; [unrolled: 1-line block ×3, first 2 shown]
	v_cmp_ne_u32_e64 s0, v28, v25
	v_cmp_ne_u32_e64 s2, v27, v28
	v_cmp_ne_u32_e64 s4, v30, v27
	v_cmp_ne_u32_e64 s7, v29, v30
	v_lshlrev_b32_e32 v57, 2, v0
	s_and_b32 s37, vcc_lo, s0
	s_and_b32 s1, s1, s2
	s_and_b32 s2, s3, s4
	;; [unrolled: 1-line block ×3, first 2 shown]
	s_mov_b32 s4, exec_lo
	ds_write_b32 v57, v58
	s_waitcnt lgkmcnt(0)
	s_barrier
	buffer_gl0_inv
                                        ; implicit-def: $sgpr15
	v_cmpx_ne_u32_e32 0, v0
	s_cbranch_execz .LBB74_82
; %bb.81:
	v_add_nc_u32_e32 v1, -4, v57
	s_or_b32 s42, s42, exec_lo
	ds_read_b32 v3, v1
	v_mul_u32_u24_e32 v1, 15, v0
	v_cmp_gt_u64_e32 vcc_lo, s[24:25], v[1:2]
	s_waitcnt lgkmcnt(0)
	v_cmp_ne_u32_e64 s0, v3, v29
	s_and_b32 s15, vcc_lo, s0
.LBB74_82:
	s_or_b32 exec_lo, exec_lo, s4
	v_cndmask_b32_e64 v61, 0, 1, s8
	v_cndmask_b32_e64 v44, 0, 1, s9
	;; [unrolled: 1-line block ×14, first 2 shown]
.LBB74_83:
	v_mov_b32_e32 v43, 1
	s_and_saveexec_b32 s0, s42
; %bb.84:
	v_cndmask_b32_e64 v43, 0, 1, s15
; %bb.85:
	s_or_b32 exec_lo, exec_lo, s0
	v_add3_u32 v1, v57, v43, v56
	v_add_f32_e32 v74, v13, v14
	v_cmp_eq_u32_e64 s13, 0, v57
	v_cmp_eq_u32_e64 s12, 0, v56
	;; [unrolled: 1-line block ×3, first 2 shown]
	v_add3_u32 v73, v1, v64, v63
	v_cmp_eq_u32_e64 s11, 0, v63
	v_cmp_eq_u32_e64 s9, 0, v62
	v_cmp_eq_u32_e64 s8, 0, v60
	v_cmp_eq_u32_e64 s7, 0, v59
	v_cmp_eq_u32_e64 s5, 0, v54
	v_cmp_eq_u32_e64 s4, 0, v52
	v_cmp_eq_u32_e64 s3, 0, v50
	v_cmp_eq_u32_e64 s2, 0, v48
	v_cmp_eq_u32_e64 s1, 0, v46
	v_cmp_eq_u32_e64 s0, 0, v44
	v_mbcnt_lo_u32_b32 v70, -1, 0
	v_lshrrev_b32_e32 v71, 5, v0
	v_or_b32_e32 v72, 31, v0
	s_cmp_eq_u64 s[22:23], 0
	v_cmp_eq_u32_e32 vcc_lo, 0, v61
	s_cselect_b32 s16, -1, 0
	s_cmp_lg_u32 s6, 0
	s_cbranch_scc0 .LBB74_107
; %bb.86:
	v_cndmask_b32_e64 v1, v14, v74, s13
	v_add3_u32 v2, v73, v62, v60
	v_and_b32_e32 v4, 15, v70
	v_and_b32_e32 v6, 16, v70
	s_mov_b32 s15, exec_lo
	v_add_f32_e32 v1, v15, v1
	v_add3_u32 v2, v2, v59, v54
	v_cndmask_b32_e64 v1, v15, v1, s12
	v_add3_u32 v2, v2, v52, v50
	v_add_f32_e32 v1, v16, v1
	v_add3_u32 v2, v2, v48, v46
	v_cndmask_b32_e64 v1, v16, v1, s10
	v_add3_u32 v2, v2, v44, v61
	v_add_f32_e32 v1, v31, v1
	v_mov_b32_dpp v5, v2 row_shr:1 row_mask:0xf bank_mask:0xf
	v_cndmask_b32_e64 v1, v31, v1, s11
	v_add_f32_e32 v1, v32, v1
	v_cndmask_b32_e64 v1, v32, v1, s9
	v_add_f32_e32 v1, v33, v1
	;; [unrolled: 2-line block ×10, first 2 shown]
	v_cndmask_b32_e32 v1, v65, v1, vcc_lo
	v_cmp_eq_u32_e32 vcc_lo, 0, v2
	v_mov_b32_dpp v3, v1 row_shr:1 row_mask:0xf bank_mask:0xf
	v_add_f32_e32 v3, v1, v3
	v_cndmask_b32_e32 v3, v1, v3, vcc_lo
	v_cmp_eq_u32_e32 vcc_lo, 0, v4
	v_cndmask_b32_e64 v5, v5, 0, vcc_lo
	v_cndmask_b32_e32 v1, v3, v1, vcc_lo
	v_add_nc_u32_e32 v2, v5, v2
	v_mov_b32_dpp v3, v1 row_shr:2 row_mask:0xf bank_mask:0xf
	v_cmp_eq_u32_e32 vcc_lo, 0, v2
	v_add_f32_e32 v3, v1, v3
	v_mov_b32_dpp v5, v2 row_shr:2 row_mask:0xf bank_mask:0xf
	v_cndmask_b32_e32 v3, v1, v3, vcc_lo
	v_cmp_lt_u32_e32 vcc_lo, 1, v4
	v_cndmask_b32_e32 v1, v1, v3, vcc_lo
	v_cndmask_b32_e32 v3, 0, v5, vcc_lo
	v_mov_b32_dpp v5, v1 row_shr:4 row_mask:0xf bank_mask:0xf
	v_add_nc_u32_e32 v2, v2, v3
	v_add_f32_e32 v3, v1, v5
	v_cmp_eq_u32_e32 vcc_lo, 0, v2
	v_mov_b32_dpp v5, v2 row_shr:4 row_mask:0xf bank_mask:0xf
	v_cndmask_b32_e32 v3, v1, v3, vcc_lo
	v_cmp_lt_u32_e32 vcc_lo, 3, v4
	v_cndmask_b32_e32 v1, v1, v3, vcc_lo
	v_cndmask_b32_e32 v3, 0, v5, vcc_lo
	v_mov_b32_dpp v5, v1 row_shr:8 row_mask:0xf bank_mask:0xf
	v_add_nc_u32_e32 v3, v3, v2
	v_add_f32_e32 v2, v1, v5
	v_cmp_eq_u32_e32 vcc_lo, 0, v3
	v_mov_b32_dpp v5, v3 row_shr:8 row_mask:0xf bank_mask:0xf
	v_cndmask_b32_e32 v2, v1, v2, vcc_lo
	v_cmp_lt_u32_e32 vcc_lo, 7, v4
	v_cndmask_b32_e32 v2, v1, v2, vcc_lo
	v_cndmask_b32_e32 v1, 0, v5, vcc_lo
	v_bfe_i32 v5, v70, 4, 1
	v_add_nc_u32_e32 v1, v1, v3
	ds_swizzle_b32 v3, v2 offset:swizzle(BROADCAST,32,15)
	ds_swizzle_b32 v4, v1 offset:swizzle(BROADCAST,32,15)
	v_cmp_eq_u32_e32 vcc_lo, 0, v1
	s_waitcnt lgkmcnt(1)
	v_add_f32_e32 v3, v2, v3
	s_waitcnt lgkmcnt(0)
	v_and_b32_e32 v7, v5, v4
	v_cndmask_b32_e32 v5, v2, v3, vcc_lo
	v_cmp_eq_u32_e32 vcc_lo, 0, v6
	v_lshlrev_b32_e32 v4, 3, v71
	v_add_nc_u32_e32 v1, v7, v1
	v_cndmask_b32_e32 v3, v5, v2, vcc_lo
	v_cmpx_eq_u32_e64 v0, v72
; %bb.87:
	v_cndmask_b32_e32 v2, v5, v2, vcc_lo
	ds_write_b64 v4, v[1:2] offset:2064
; %bb.88:
	s_or_b32 exec_lo, exec_lo, s15
	s_mov_b32 s15, exec_lo
	s_waitcnt lgkmcnt(0)
	s_barrier
	buffer_gl0_inv
	v_cmpx_gt_u32_e32 8, v0
	s_cbranch_execz .LBB74_90
; %bb.89:
	v_lshlrev_b32_e32 v2, 3, v0
	v_and_b32_e32 v8, 7, v70
	ds_read_b64 v[5:6], v2 offset:2064
	s_waitcnt lgkmcnt(0)
	v_mov_b32_dpp v7, v6 row_shr:1 row_mask:0xf bank_mask:0xf
	v_cmp_eq_u32_e32 vcc_lo, 0, v5
	v_mov_b32_dpp v37, v5 row_shr:1 row_mask:0xf bank_mask:0xf
	v_add_f32_e32 v7, v6, v7
	v_cndmask_b32_e32 v7, v6, v7, vcc_lo
	v_cmp_eq_u32_e32 vcc_lo, 0, v8
	v_cndmask_b32_e64 v37, v37, 0, vcc_lo
	v_cndmask_b32_e32 v6, v7, v6, vcc_lo
	v_add_nc_u32_e32 v5, v37, v5
	v_mov_b32_dpp v7, v6 row_shr:2 row_mask:0xf bank_mask:0xf
	v_cmp_eq_u32_e32 vcc_lo, 0, v5
	v_add_f32_e32 v7, v6, v7
	v_mov_b32_dpp v37, v5 row_shr:2 row_mask:0xf bank_mask:0xf
	v_cndmask_b32_e32 v7, v6, v7, vcc_lo
	v_cmp_lt_u32_e32 vcc_lo, 1, v8
	v_cndmask_b32_e32 v6, v6, v7, vcc_lo
	v_cndmask_b32_e32 v7, 0, v37, vcc_lo
	v_cmp_lt_u32_e32 vcc_lo, 3, v8
	v_mov_b32_dpp v37, v6 row_shr:4 row_mask:0xf bank_mask:0xf
	v_add_nc_u32_e32 v5, v7, v5
	v_add_f32_e32 v8, v6, v37
	v_mov_b32_dpp v7, v5 row_shr:4 row_mask:0xf bank_mask:0xf
	v_cmp_eq_u32_e64 s14, 0, v5
	v_cndmask_b32_e32 v7, 0, v7, vcc_lo
	s_and_b32 vcc_lo, vcc_lo, s14
	v_cndmask_b32_e32 v6, v6, v8, vcc_lo
	v_add_nc_u32_e32 v5, v7, v5
	ds_write_b64 v2, v[5:6] offset:2064
.LBB74_90:
	s_or_b32 exec_lo, exec_lo, s15
	v_mov_b32_e32 v38, 0
	v_mov_b32_e32 v37, 0
	s_mov_b32 s15, exec_lo
	v_cmp_gt_u32_e32 vcc_lo, 32, v0
	s_waitcnt lgkmcnt(0)
	s_barrier
	buffer_gl0_inv
	v_cmpx_lt_u32_e32 31, v0
	s_cbranch_execz .LBB74_92
; %bb.91:
	ds_read_b64 v[37:38], v4 offset:2056
	v_cmp_eq_u32_e64 s14, 0, v1
	s_waitcnt lgkmcnt(0)
	v_add_f32_e32 v2, v3, v38
	v_add_nc_u32_e32 v4, v37, v1
	v_cndmask_b32_e64 v3, v3, v2, s14
	v_mov_b32_e32 v1, v4
.LBB74_92:
	s_or_b32 exec_lo, exec_lo, s15
	v_sub_co_u32 v2, s14, v70, 1
	v_cmp_gt_i32_e64 s15, 0, v2
	v_cndmask_b32_e64 v2, v2, v70, s15
	v_lshlrev_b32_e32 v2, 2, v2
	ds_bpermute_b32 v45, v2, v1
	ds_bpermute_b32 v47, v2, v3
	s_and_saveexec_b32 s15, vcc_lo
	s_cbranch_execz .LBB74_112
; %bb.93:
	v_mov_b32_e32 v4, 0
	ds_read_b64 v[1:2], v4 offset:2120
	s_and_saveexec_b32 s17, s14
	s_cbranch_execz .LBB74_95
; %bb.94:
	s_add_i32 s22, s6, 32
	s_mov_b32 s23, 0
	v_mov_b32_e32 v3, 1
	s_lshl_b64 s[22:23], s[22:23], 4
	s_add_u32 s22, s20, s22
	s_addc_u32 s23, s21, s23
	v_mov_b32_e32 v5, s22
	v_mov_b32_e32 v6, s23
	s_waitcnt lgkmcnt(0)
	;;#ASMSTART
	global_store_dwordx4 v[5:6], v[1:4] off	
s_waitcnt vmcnt(0)
	;;#ASMEND
.LBB74_95:
	s_or_b32 exec_lo, exec_lo, s17
	v_xad_u32 v39, v70, -1, s6
	s_mov_b32 s22, 0
	v_add_nc_u32_e32 v3, 32, v39
	v_lshlrev_b64 v[5:6], 4, v[3:4]
	v_add_co_u32 v40, vcc_lo, s20, v5
	v_add_co_ci_u32_e64 v41, null, s21, v6, vcc_lo
	;;#ASMSTART
	global_load_dwordx4 v[5:8], v[40:41] off glc dlc	
s_waitcnt vmcnt(0)
	;;#ASMEND
	v_alignbit_b32 v8, v6, v5, 8
	v_alignbit_b32 v42, v6, v5, 16
	;; [unrolled: 1-line block ×3, first 2 shown]
	v_cmp_eq_u16_sdwa s23, v7, v4 src0_sel:BYTE_0 src1_sel:DWORD
	s_and_saveexec_b32 s17, s23
	s_cbranch_execz .LBB74_99
; %bb.96:
	v_mov_b32_e32 v3, 0
.LBB74_97:                              ; =>This Inner Loop Header: Depth=1
	;;#ASMSTART
	global_load_dwordx4 v[5:8], v[40:41] off glc dlc	
s_waitcnt vmcnt(0)
	;;#ASMEND
	v_cmp_ne_u16_sdwa s23, v7, v3 src0_sel:BYTE_0 src1_sel:DWORD
	s_or_b32 s22, s23, s22
	s_andn2_b32 exec_lo, exec_lo, s22
	s_cbranch_execnz .LBB74_97
; %bb.98:
	s_or_b32 exec_lo, exec_lo, s22
	v_alignbit_b32 v3, v6, v5, 24
	v_alignbit_b32 v42, v6, v5, 16
	;; [unrolled: 1-line block ×3, first 2 shown]
.LBB74_99:
	s_or_b32 exec_lo, exec_lo, s17
	v_cmp_ne_u32_e32 vcc_lo, 31, v70
	v_lshlrev_b32_e32 v40, 16, v42
	v_mov_b32_e32 v51, 2
	v_lshlrev_b32_e32 v8, 8, v8
	v_and_b32_e32 v5, 0xff, v5
	v_add_co_ci_u32_e64 v4, null, 0, v70, vcc_lo
	v_lshlrev_b32_e64 v53, v70, -1
	v_perm_b32 v3, v3, v40, 0x4020c0c
	v_cmp_eq_u16_sdwa s17, v7, v51 src0_sel:BYTE_0 src1_sel:DWORD
	v_lshlrev_b32_e32 v49, 2, v4
	v_and_b32_e32 v8, 0xff00, v8
	v_cmp_gt_u32_e32 vcc_lo, 30, v70
	v_add_nc_u32_e32 v66, 2, v70
	v_and_or_b32 v40, s17, v53, 0x80000000
	ds_bpermute_b32 v4, v49, v6
	v_or3_b32 v3, v3, v8, v5
	v_cndmask_b32_e64 v5, 0, 2, vcc_lo
	v_add_nc_u32_e32 v68, 4, v70
	v_ffbl_b32_e32 v8, v40
	v_add_nc_u32_e32 v75, 8, v70
	v_cmp_eq_u32_e32 vcc_lo, 0, v3
	v_add_lshl_u32 v55, v5, v70, 2
	ds_bpermute_b32 v5, v49, v3
	v_lshl_or_b32 v76, v70, 2, 64
	v_add_nc_u32_e32 v77, 16, v70
	s_waitcnt lgkmcnt(1)
	v_add_f32_e32 v4, v6, v4
	v_cndmask_b32_e32 v4, v6, v4, vcc_lo
	v_cmp_lt_u32_e32 vcc_lo, v70, v8
	v_cndmask_b32_e32 v4, v6, v4, vcc_lo
	s_waitcnt lgkmcnt(0)
	v_cndmask_b32_e32 v5, 0, v5, vcc_lo
	v_cmp_gt_u32_e32 vcc_lo, 28, v70
	ds_bpermute_b32 v6, v55, v4
	v_add_nc_u32_e32 v3, v5, v3
	ds_bpermute_b32 v40, v55, v3
	s_waitcnt lgkmcnt(1)
	v_add_f32_e32 v5, v4, v6
	v_cndmask_b32_e64 v6, 0, 4, vcc_lo
	v_cmp_eq_u32_e32 vcc_lo, 0, v3
	v_add_lshl_u32 v67, v6, v70, 2
	v_cndmask_b32_e32 v5, v4, v5, vcc_lo
	v_cmp_gt_u32_e32 vcc_lo, v66, v8
	v_cndmask_b32_e32 v4, v5, v4, vcc_lo
	s_waitcnt lgkmcnt(0)
	v_cndmask_b32_e64 v6, v40, 0, vcc_lo
	v_cmp_gt_u32_e32 vcc_lo, 24, v70
	ds_bpermute_b32 v5, v67, v4
	v_add_nc_u32_e32 v3, v3, v6
	v_cndmask_b32_e64 v40, 0, 8, vcc_lo
	ds_bpermute_b32 v6, v67, v3
	v_cmp_eq_u32_e32 vcc_lo, 0, v3
	v_add_lshl_u32 v69, v40, v70, 2
	s_waitcnt lgkmcnt(1)
	v_add_f32_e32 v5, v4, v5
	v_cndmask_b32_e32 v5, v4, v5, vcc_lo
	v_cmp_gt_u32_e32 vcc_lo, v68, v8
	v_cndmask_b32_e32 v4, v5, v4, vcc_lo
	s_waitcnt lgkmcnt(0)
	v_cndmask_b32_e64 v6, v6, 0, vcc_lo
	ds_bpermute_b32 v5, v69, v4
	v_add_nc_u32_e32 v3, v3, v6
	ds_bpermute_b32 v6, v69, v3
	v_cmp_eq_u32_e32 vcc_lo, 0, v3
	s_waitcnt lgkmcnt(1)
	v_add_f32_e32 v5, v4, v5
	v_cndmask_b32_e32 v5, v4, v5, vcc_lo
	v_cmp_gt_u32_e32 vcc_lo, v75, v8
	v_cndmask_b32_e32 v4, v5, v4, vcc_lo
	s_waitcnt lgkmcnt(0)
	v_cndmask_b32_e64 v6, v6, 0, vcc_lo
	ds_bpermute_b32 v5, v76, v4
	v_add_nc_u32_e32 v3, v3, v6
	ds_bpermute_b32 v40, v76, v3
	v_cmp_eq_u32_e32 vcc_lo, 0, v3
	s_waitcnt lgkmcnt(1)
	v_add_f32_e32 v5, v4, v5
	v_cndmask_b32_e32 v5, v4, v5, vcc_lo
	v_cmp_gt_u32_e32 vcc_lo, v77, v8
	v_cndmask_b32_e32 v6, v5, v4, vcc_lo
	s_waitcnt lgkmcnt(0)
	v_cndmask_b32_e64 v4, v40, 0, vcc_lo
	v_mov_b32_e32 v40, 0
	v_add_nc_u32_e32 v5, v4, v3
	s_branch .LBB74_103
.LBB74_100:                             ;   in Loop: Header=BB74_103 Depth=1
	s_or_b32 exec_lo, exec_lo, s22
	v_alignbit_b32 v8, v6, v5, 24
	v_alignbit_b32 v79, v6, v5, 16
	;; [unrolled: 1-line block ×3, first 2 shown]
.LBB74_101:                             ;   in Loop: Header=BB74_103 Depth=1
	s_or_b32 exec_lo, exec_lo, s17
	ds_bpermute_b32 v41, v49, v6
	v_lshlrev_b32_e32 v42, 16, v79
	v_lshlrev_b32_e32 v78, 8, v78
	v_cmp_eq_u16_sdwa s17, v7, v51 src0_sel:BYTE_0 src1_sel:DWORD
	v_and_b32_e32 v5, 0xff, v5
	v_subrev_nc_u32_e32 v39, 32, v39
	v_perm_b32 v8, v8, v42, 0x4020c0c
	v_and_b32_e32 v42, 0xff00, v78
	v_and_or_b32 v78, s17, v53, 0x80000000
	s_mov_b32 s17, 0
	v_or3_b32 v5, v8, v42, v5
	v_cmp_eq_u32_e32 vcc_lo, 0, v5
	ds_bpermute_b32 v42, v49, v5
	s_waitcnt lgkmcnt(1)
	v_add_f32_e32 v8, v6, v41
	v_ffbl_b32_e32 v41, v78
	v_cndmask_b32_e32 v8, v6, v8, vcc_lo
	v_cmp_lt_u32_e32 vcc_lo, v70, v41
	v_cndmask_b32_e32 v6, v6, v8, vcc_lo
	ds_bpermute_b32 v8, v55, v6
	s_waitcnt lgkmcnt(1)
	v_cndmask_b32_e32 v42, 0, v42, vcc_lo
	v_add_nc_u32_e32 v5, v42, v5
	v_cmp_eq_u32_e32 vcc_lo, 0, v5
	ds_bpermute_b32 v42, v55, v5
	s_waitcnt lgkmcnt(1)
	v_add_f32_e32 v8, v6, v8
	v_cndmask_b32_e32 v8, v6, v8, vcc_lo
	v_cmp_gt_u32_e32 vcc_lo, v66, v41
	v_cndmask_b32_e32 v6, v8, v6, vcc_lo
	s_waitcnt lgkmcnt(0)
	v_cndmask_b32_e64 v42, v42, 0, vcc_lo
	ds_bpermute_b32 v8, v67, v6
	v_add_nc_u32_e32 v5, v5, v42
	v_cmp_eq_u32_e32 vcc_lo, 0, v5
	ds_bpermute_b32 v42, v67, v5
	s_waitcnt lgkmcnt(1)
	v_add_f32_e32 v8, v6, v8
	v_cndmask_b32_e32 v8, v6, v8, vcc_lo
	v_cmp_gt_u32_e32 vcc_lo, v68, v41
	v_cndmask_b32_e32 v6, v8, v6, vcc_lo
	s_waitcnt lgkmcnt(0)
	v_cndmask_b32_e64 v42, v42, 0, vcc_lo
	ds_bpermute_b32 v8, v69, v6
	v_add_nc_u32_e32 v5, v5, v42
	ds_bpermute_b32 v42, v69, v5
	v_cmp_eq_u32_e32 vcc_lo, 0, v5
	s_waitcnt lgkmcnt(1)
	v_add_f32_e32 v8, v6, v8
	v_cndmask_b32_e32 v8, v6, v8, vcc_lo
	v_cmp_gt_u32_e32 vcc_lo, v75, v41
	v_cndmask_b32_e32 v6, v8, v6, vcc_lo
	s_waitcnt lgkmcnt(0)
	v_cndmask_b32_e64 v42, v42, 0, vcc_lo
	ds_bpermute_b32 v8, v76, v6
	v_add_nc_u32_e32 v5, v5, v42
	ds_bpermute_b32 v42, v76, v5
	v_cmp_eq_u32_e32 vcc_lo, 0, v5
	s_waitcnt lgkmcnt(1)
	v_add_f32_e32 v8, v6, v8
	v_cndmask_b32_e32 v8, v6, v8, vcc_lo
	v_cmp_gt_u32_e32 vcc_lo, v77, v41
	v_cndmask_b32_e32 v6, v8, v6, vcc_lo
	s_waitcnt lgkmcnt(0)
	v_cndmask_b32_e64 v8, v42, 0, vcc_lo
	v_cmp_eq_u32_e32 vcc_lo, 0, v3
	v_add_f32_e32 v6, v4, v6
	v_add3_u32 v5, v5, v3, v8
	v_cndmask_b32_e32 v6, v4, v6, vcc_lo
.LBB74_102:                             ;   in Loop: Header=BB74_103 Depth=1
	s_and_b32 vcc_lo, exec_lo, s17
	s_cbranch_vccnz .LBB74_108
.LBB74_103:                             ; =>This Loop Header: Depth=1
                                        ;     Child Loop BB74_106 Depth 2
	v_cmp_ne_u16_sdwa s17, v7, v51 src0_sel:BYTE_0 src1_sel:DWORD
	v_mov_b32_e32 v4, v6
	v_mov_b32_e32 v3, v5
                                        ; implicit-def: $vgpr6
                                        ; implicit-def: $vgpr5
                                        ; implicit-def: $vgpr7
	s_cmp_lg_u32 s17, exec_lo
	s_mov_b32 s17, -1
	s_cbranch_scc1 .LBB74_102
; %bb.104:                              ;   in Loop: Header=BB74_103 Depth=1
	v_lshlrev_b64 v[5:6], 4, v[39:40]
	v_add_co_u32 v41, vcc_lo, s20, v5
	v_add_co_ci_u32_e64 v42, null, s21, v6, vcc_lo
	;;#ASMSTART
	global_load_dwordx4 v[5:8], v[41:42] off glc dlc	
s_waitcnt vmcnt(0)
	;;#ASMEND
	v_alignbit_b32 v78, v6, v5, 8
	v_alignbit_b32 v79, v6, v5, 16
	v_alignbit_b32 v8, v6, v5, 24
	v_cmp_eq_u16_sdwa s22, v7, v40 src0_sel:BYTE_0 src1_sel:DWORD
	s_and_saveexec_b32 s17, s22
	s_cbranch_execz .LBB74_101
; %bb.105:                              ;   in Loop: Header=BB74_103 Depth=1
	s_mov_b32 s22, 0
.LBB74_106:                             ;   Parent Loop BB74_103 Depth=1
                                        ; =>  This Inner Loop Header: Depth=2
	;;#ASMSTART
	global_load_dwordx4 v[5:8], v[41:42] off glc dlc	
s_waitcnt vmcnt(0)
	;;#ASMEND
	v_cmp_ne_u16_sdwa s23, v7, v40 src0_sel:BYTE_0 src1_sel:DWORD
	s_or_b32 s22, s23, s22
	s_andn2_b32 exec_lo, exec_lo, s22
	s_cbranch_execnz .LBB74_106
	s_branch .LBB74_100
.LBB74_107:
                                        ; implicit-def: $vgpr1
                                        ; implicit-def: $vgpr37
                                        ; implicit-def: $vgpr5
                                        ; implicit-def: $vgpr68
                                        ; implicit-def: $vgpr66
                                        ; implicit-def: $vgpr42
                                        ; implicit-def: $vgpr38
                                        ; implicit-def: $vgpr40
                                        ; implicit-def: $vgpr39
                                        ; implicit-def: $vgpr41
                                        ; implicit-def: $vgpr45
                                        ; implicit-def: $vgpr47
                                        ; implicit-def: $vgpr49
                                        ; implicit-def: $vgpr51
                                        ; implicit-def: $vgpr53
                                        ; implicit-def: $vgpr55
                                        ; implicit-def: $vgpr67
                                        ; implicit-def: $vgpr69
	s_cbranch_execnz .LBB74_113
	s_branch .LBB74_124
.LBB74_108:
	s_and_saveexec_b32 s17, s14
	s_cbranch_execz .LBB74_110
; %bb.109:
	s_mov_b32 s23, 0
	s_add_i32 s22, s6, 32
	v_add_f32_e32 v6, v4, v2
	s_lshl_b64 s[22:23], s[22:23], 4
	v_cmp_eq_u32_e32 vcc_lo, 0, v1
	s_add_u32 s22, s20, s22
	s_addc_u32 s23, s21, s23
	v_mov_b32_e32 v8, 0
	v_mov_b32_e32 v40, s23
	v_add_nc_u32_e32 v5, v3, v1
	v_cndmask_b32_e32 v6, v2, v6, vcc_lo
	v_mov_b32_e32 v7, 2
	v_mov_b32_e32 v39, s22
	;;#ASMSTART
	global_store_dwordx4 v[39:40], v[5:8] off	
s_waitcnt vmcnt(0)
	;;#ASMEND
	ds_write_b128 v8, v[1:4] offset:2048
.LBB74_110:
	s_or_b32 exec_lo, exec_lo, s17
	v_cmp_eq_u32_e32 vcc_lo, 0, v0
	s_and_b32 exec_lo, exec_lo, vcc_lo
; %bb.111:
	v_mov_b32_e32 v1, 0
	ds_write_b64 v1, v[3:4] offset:2120
.LBB74_112:
	s_or_b32 exec_lo, exec_lo, s15
	v_mov_b32_e32 v1, 0
	s_waitcnt lgkmcnt(0)
	s_barrier
	buffer_gl0_inv
	v_cndmask_b32_e64 v2, v47, v38, s14
	ds_read_b64 v[5:6], v1 offset:2120
	v_cndmask_b32_e64 v7, v45, v37, s14
	v_cmp_eq_u32_e64 s6, 0, v43
	s_waitcnt lgkmcnt(0)
	s_barrier
	buffer_gl0_inv
	v_cmp_eq_u32_e32 vcc_lo, 0, v7
	v_add_f32_e32 v3, v2, v6
	v_cndmask_b32_e32 v2, v2, v3, vcc_lo
	v_cmp_eq_u32_e32 vcc_lo, 0, v0
	v_cndmask_b32_e32 v68, v2, v6, vcc_lo
	v_add_f32_e32 v2, v13, v68
	v_cndmask_b32_e64 v66, v13, v2, s6
	v_add_f32_e32 v2, v14, v66
	v_cndmask_b32_e64 v69, v14, v2, s13
	;; [unrolled: 2-line block ×11, first 2 shown]
	ds_read_b128 v[1:4], v1 offset:2048
	v_add_f32_e32 v6, v12, v39
	v_cndmask_b32_e64 v40, v12, v6, s2
	v_add_f32_e32 v6, v9, v40
	v_cndmask_b32_e64 v38, v9, v6, s1
	v_cndmask_b32_e64 v6, v7, 0, vcc_lo
	s_waitcnt lgkmcnt(0)
	v_add_f32_e32 v4, v4, v2
	v_cmp_eq_u32_e32 vcc_lo, 0, v1
	v_add_f32_e32 v7, v10, v38
	v_add_nc_u32_e32 v6, v5, v6
	v_mov_b32_e32 v5, v3
	v_cndmask_b32_e32 v37, v2, v4, vcc_lo
	v_cndmask_b32_e64 v42, v10, v7, s0
	v_mov_b32_e32 v4, v6
	s_branch .LBB74_124
.LBB74_113:
	s_cmp_eq_u64 s[34:35], 0
	v_mov_b32_e32 v5, v13
	s_cselect_b32 s0, -1, 0
	s_or_b32 s0, s16, s0
	s_and_b32 vcc_lo, exec_lo, s0
	s_cbranch_vccnz .LBB74_115
; %bb.114:
	v_mov_b32_e32 v1, 0
	global_load_dword v5, v1, s[34:35]
.LBB74_115:
	v_cmp_eq_u32_e64 s0, 0, v57
	v_cmp_eq_u32_e64 s1, 0, v56
	;; [unrolled: 1-line block ×5, first 2 shown]
	v_cndmask_b32_e64 v1, v14, v74, s0
	v_cmp_eq_u32_e64 s5, 0, v60
	v_cmp_eq_u32_e64 s6, 0, v59
	;; [unrolled: 1-line block ×4, first 2 shown]
	v_add_f32_e32 v1, v15, v1
	v_cmp_eq_u32_e64 s11, 0, v50
	v_cmp_eq_u32_e64 s8, 0, v48
	v_cmp_eq_u32_e64 s10, 0, v46
	v_add3_u32 v2, v73, v62, v60
	v_cndmask_b32_e64 v1, v15, v1, s1
	v_cmp_eq_u32_e32 vcc_lo, 0, v44
	v_cmp_eq_u32_e64 s12, 0, v61
	v_and_b32_e32 v4, 15, v70
	v_add3_u32 v2, v2, v59, v54
	v_add_f32_e32 v1, v16, v1
	v_and_b32_e32 v7, 16, v70
	v_add3_u32 v2, v2, v52, v50
	v_cndmask_b32_e64 v1, v16, v1, s2
	v_cmp_eq_u32_e64 s13, 0, v7
	v_add3_u32 v2, v2, v48, v46
	v_add_f32_e32 v1, v31, v1
	v_add3_u32 v2, v2, v44, v61
	v_cndmask_b32_e64 v1, v31, v1, s3
	v_mov_b32_dpp v6, v2 row_shr:1 row_mask:0xf bank_mask:0xf
	v_add_f32_e32 v1, v32, v1
	v_cndmask_b32_e64 v1, v32, v1, s4
	v_add_f32_e32 v1, v33, v1
	v_cndmask_b32_e64 v1, v33, v1, s5
	;; [unrolled: 2-line block ×8, first 2 shown]
	v_add_f32_e32 v1, v10, v1
	v_cndmask_b32_e32 v1, v10, v1, vcc_lo
	v_add_f32_e32 v1, v65, v1
	v_cndmask_b32_e64 v1, v65, v1, s12
	v_cmp_eq_u32_e64 s12, 0, v2
	v_mov_b32_dpp v3, v1 row_shr:1 row_mask:0xf bank_mask:0xf
	v_add_f32_e32 v3, v1, v3
	v_cndmask_b32_e64 v3, v1, v3, s12
	v_cmp_eq_u32_e64 s12, 0, v4
	v_cndmask_b32_e64 v6, v6, 0, s12
	v_cndmask_b32_e64 v1, v3, v1, s12
	v_add_nc_u32_e32 v2, v6, v2
	v_mov_b32_dpp v3, v1 row_shr:2 row_mask:0xf bank_mask:0xf
	v_cmp_eq_u32_e64 s12, 0, v2
	v_add_f32_e32 v3, v1, v3
	v_mov_b32_dpp v6, v2 row_shr:2 row_mask:0xf bank_mask:0xf
	v_cndmask_b32_e64 v3, v1, v3, s12
	v_cmp_lt_u32_e64 s12, 1, v4
	v_cndmask_b32_e64 v1, v1, v3, s12
	v_cndmask_b32_e64 v3, 0, v6, s12
	v_mov_b32_dpp v6, v1 row_shr:4 row_mask:0xf bank_mask:0xf
	v_add_nc_u32_e32 v2, v2, v3
	v_add_f32_e32 v3, v1, v6
	v_cmp_eq_u32_e64 s12, 0, v2
	v_mov_b32_dpp v6, v2 row_shr:4 row_mask:0xf bank_mask:0xf
	v_cndmask_b32_e64 v3, v1, v3, s12
	v_cmp_lt_u32_e64 s12, 3, v4
	v_cndmask_b32_e64 v1, v1, v3, s12
	v_cndmask_b32_e64 v3, 0, v6, s12
	v_mov_b32_dpp v6, v1 row_shr:8 row_mask:0xf bank_mask:0xf
	v_add_nc_u32_e32 v2, v3, v2
	v_add_f32_e32 v3, v1, v6
	v_cmp_eq_u32_e64 s12, 0, v2
	v_mov_b32_dpp v6, v2 row_shr:8 row_mask:0xf bank_mask:0xf
	v_cndmask_b32_e64 v3, v1, v3, s12
	v_cmp_lt_u32_e64 s12, 7, v4
	v_cndmask_b32_e64 v3, v1, v3, s12
	v_cndmask_b32_e64 v1, 0, v6, s12
	v_bfe_i32 v6, v70, 4, 1
	v_add_nc_u32_e32 v1, v1, v2
	ds_swizzle_b32 v2, v3 offset:swizzle(BROADCAST,32,15)
	ds_swizzle_b32 v4, v1 offset:swizzle(BROADCAST,32,15)
	v_cmp_eq_u32_e64 s12, 0, v1
	s_waitcnt lgkmcnt(1)
	v_add_f32_e32 v2, v3, v2
	s_waitcnt lgkmcnt(0)
	v_and_b32_e32 v4, v6, v4
	v_cndmask_b32_e64 v2, v3, v2, s12
	v_add_nc_u32_e32 v1, v4, v1
	v_cndmask_b32_e64 v2, v2, v3, s13
	v_lshlrev_b32_e32 v4, 3, v71
	s_mov_b32 s13, exec_lo
	v_cmpx_eq_u32_e64 v0, v72
; %bb.116:
	ds_write_b64 v4, v[1:2] offset:2064
; %bb.117:
	s_or_b32 exec_lo, exec_lo, s13
	s_mov_b32 s14, exec_lo
	s_waitcnt vmcnt(0) lgkmcnt(0)
	s_barrier
	buffer_gl0_inv
	v_cmpx_gt_u32_e32 8, v0
	s_cbranch_execz .LBB74_119
; %bb.118:
	v_lshlrev_b32_e32 v3, 3, v0
	v_and_b32_e32 v37, 7, v70
	ds_read_b64 v[6:7], v3 offset:2064
	s_waitcnt lgkmcnt(0)
	v_mov_b32_dpp v8, v7 row_shr:1 row_mask:0xf bank_mask:0xf
	v_cmp_eq_u32_e64 s12, 0, v6
	v_mov_b32_dpp v38, v6 row_shr:1 row_mask:0xf bank_mask:0xf
	v_add_f32_e32 v8, v7, v8
	v_cndmask_b32_e64 v8, v7, v8, s12
	v_cmp_eq_u32_e64 s12, 0, v37
	v_cndmask_b32_e64 v38, v38, 0, s12
	v_cndmask_b32_e64 v7, v8, v7, s12
	v_add_nc_u32_e32 v6, v38, v6
	v_mov_b32_dpp v8, v7 row_shr:2 row_mask:0xf bank_mask:0xf
	v_cmp_eq_u32_e64 s12, 0, v6
	v_add_f32_e32 v8, v7, v8
	v_mov_b32_dpp v38, v6 row_shr:2 row_mask:0xf bank_mask:0xf
	v_cndmask_b32_e64 v8, v7, v8, s12
	v_cmp_lt_u32_e64 s12, 1, v37
	v_cndmask_b32_e64 v7, v7, v8, s12
	v_cndmask_b32_e64 v8, 0, v38, s12
	v_cmp_lt_u32_e64 s12, 3, v37
	v_mov_b32_dpp v38, v7 row_shr:4 row_mask:0xf bank_mask:0xf
	v_add_nc_u32_e32 v6, v8, v6
	v_add_f32_e32 v37, v7, v38
	v_mov_b32_dpp v8, v6 row_shr:4 row_mask:0xf bank_mask:0xf
	v_cmp_eq_u32_e64 s13, 0, v6
	v_cndmask_b32_e64 v8, 0, v8, s12
	s_and_b32 s12, s12, s13
	v_cndmask_b32_e64 v7, v7, v37, s12
	v_add_nc_u32_e32 v6, v8, v6
	ds_write_b64 v3, v[6:7] offset:2064
.LBB74_119:
	s_or_b32 exec_lo, exec_lo, s14
	v_mov_b32_e32 v6, 0
	v_mov_b32_e32 v3, 0
	;; [unrolled: 1-line block ×3, first 2 shown]
	s_mov_b32 s13, exec_lo
	s_waitcnt lgkmcnt(0)
	s_barrier
	buffer_gl0_inv
	v_cmpx_lt_u32_e32 31, v0
	s_cbranch_execz .LBB74_121
; %bb.120:
	ds_read_b64 v[3:4], v4 offset:2056
	s_waitcnt lgkmcnt(0)
	v_add_f32_e32 v7, v5, v4
	v_cmp_eq_u32_e64 s12, 0, v3
	v_cndmask_b32_e64 v7, v4, v7, s12
.LBB74_121:
	s_or_b32 exec_lo, exec_lo, s13
	v_sub_co_u32 v4, s12, v70, 1
	v_add_f32_e32 v8, v2, v7
	v_add_nc_u32_e32 v37, v3, v1
	v_cmp_gt_i32_e64 s13, 0, v4
	v_cndmask_b32_e64 v4, v4, v70, s13
	v_cmp_eq_u32_e64 s13, 0, v1
	v_lshlrev_b32_e32 v4, 2, v4
	v_cndmask_b32_e64 v1, v2, v8, s13
	v_cmp_eq_u32_e64 s13, 0, v43
	ds_bpermute_b32 v2, v4, v37
	ds_bpermute_b32 v1, v4, v1
	s_waitcnt lgkmcnt(1)
	v_cndmask_b32_e64 v4, v2, v3, s12
	s_waitcnt lgkmcnt(0)
	v_cndmask_b32_e64 v68, v1, v7, s12
	v_cmp_eq_u32_e64 s12, 0, v0
	v_cndmask_b32_e64 v1, v68, v5, s12
	v_add_f32_e32 v1, v13, v1
	v_cndmask_b32_e64 v66, v13, v1, s13
	v_add_f32_e32 v1, v14, v66
	;; [unrolled: 2-line block ×11, first 2 shown]
	v_cndmask_b32_e64 v39, v11, v1, s11
	ds_read_b64 v[1:2], v6 offset:2120
	v_add_f32_e32 v3, v12, v39
	v_cndmask_b32_e64 v40, v12, v3, s8
	v_add_f32_e32 v3, v9, v40
	v_cndmask_b32_e64 v38, v9, v3, s10
	s_waitcnt lgkmcnt(0)
	v_add_f32_e32 v3, v5, v2
	v_cmp_eq_u32_e64 s0, 0, v1
	v_add_f32_e32 v6, v10, v38
	v_cndmask_b32_e64 v37, v2, v3, s0
	s_and_saveexec_b32 s0, s12
	s_cbranch_execz .LBB74_123
; %bb.122:
	s_add_u32 s2, s20, 0x200
	s_addc_u32 s3, s21, 0
	v_mov_b32_e32 v4, 0
	v_mov_b32_e32 v68, v5
	;; [unrolled: 1-line block ×6, first 2 shown]
	;;#ASMSTART
	global_store_dwordx4 v[7:8], v[1:4] off	
s_waitcnt vmcnt(0)
	;;#ASMEND
.LBB74_123:
	s_or_b32 exec_lo, exec_lo, s0
	v_cndmask_b32_e32 v42, v10, v6, vcc_lo
	v_mov_b32_e32 v5, 0
.LBB74_124:
	s_cmp_eq_u64 s[38:39], 0
	v_mov_b32_e32 v7, 0
	s_cselect_b32 s0, -1, 0
	v_mov_b32_e32 v8, 0
	s_or_b32 s0, s16, s0
	s_and_b32 vcc_lo, exec_lo, s0
	s_barrier
	buffer_gl0_inv
	s_cbranch_vccnz .LBB74_126
; %bb.125:
	v_mov_b32_e32 v2, 0
	global_load_dwordx2 v[7:8], v2, s[38:39]
.LBB74_126:
	v_cmp_eq_u32_e32 vcc_lo, 0, v43
	v_add_nc_u32_e32 v65, v4, v43
	v_cmp_ne_u32_e64 s12, 0, v43
	v_cmp_ne_u32_e64 s11, 0, v57
	;; [unrolled: 1-line block ×3, first 2 shown]
	v_cndmask_b32_e64 v2, 1, 2, vcc_lo
	v_cmp_eq_u32_e32 vcc_lo, 0, v57
	v_add_nc_u32_e32 v71, v65, v57
	v_cmp_ne_u32_e64 s8, 0, v64
	v_cmp_ne_u32_e64 s14, 0, v63
	;; [unrolled: 1-line block ×3, first 2 shown]
	v_cndmask_b32_e64 v3, 1, 2, vcc_lo
	v_cmp_eq_u32_e32 vcc_lo, 0, v56
	v_add_nc_u32_e32 v70, v71, v56
	v_cmp_ne_u32_e64 s10, 0, v60
	v_cmp_ne_u32_e64 s7, 0, v59
	v_and_b32_e32 v2, v3, v2
	v_cndmask_b32_e64 v6, 1, 2, vcc_lo
	v_cmp_eq_u32_e32 vcc_lo, 0, v64
	v_add_nc_u32_e32 v36, v70, v64
	v_cmp_ne_u32_e64 s6, 0, v54
	v_cmp_ne_u32_e64 s5, 0, v52
	v_and_b32_e32 v6, v2, v6
	v_cndmask_b32_e64 v9, 1, 2, vcc_lo
	v_cmp_eq_u32_e32 vcc_lo, 0, v63
	v_add_nc_u32_e32 v35, v36, v63
	s_waitcnt vmcnt(0)
	v_lshlrev_b64 v[2:3], 2, v[7:8]
	v_cmp_ne_u32_e64 s4, 0, v50
	v_and_b32_e32 v9, v6, v9
	v_cndmask_b32_e64 v10, 1, 2, vcc_lo
	v_cmp_eq_u32_e32 vcc_lo, 0, v62
	v_add_nc_u32_e32 v34, v35, v62
	v_mov_b32_e32 v6, 0
	v_cmp_ne_u32_e64 s3, 0, v48
	v_and_b32_e32 v9, v9, v10
	v_cndmask_b32_e64 v11, 1, 2, vcc_lo
	v_cmp_eq_u32_e32 vcc_lo, 0, v60
	v_add_nc_u32_e32 v33, v34, v60
	v_cmp_ne_u32_e64 s2, 0, v46
	v_cmp_ne_u32_e64 s1, 0, v44
	v_and_b32_e32 v9, v9, v11
	v_cndmask_b32_e64 v10, 1, 2, vcc_lo
	v_cmp_eq_u32_e32 vcc_lo, 0, v59
	v_add_nc_u32_e32 v32, v33, v59
	v_cmp_ne_u32_e64 s0, 0, v61
	s_mov_b32 s16, -1
	v_and_b32_e32 v9, v9, v10
	v_cndmask_b32_e64 v11, 1, 2, vcc_lo
	v_cmp_eq_u32_e32 vcc_lo, 0, v54
	v_add_nc_u32_e32 v31, v32, v54
	v_and_b32_e32 v9, v9, v11
	v_cndmask_b32_e64 v10, 1, 2, vcc_lo
	v_cmp_eq_u32_e32 vcc_lo, 0, v52
	v_add_nc_u32_e32 v16, v31, v52
	;; [unrolled: 4-line block ×3, first 2 shown]
	v_and_b32_e32 v11, v9, v11
	v_cndmask_b32_e64 v12, 1, 2, vcc_lo
	v_cmp_eq_u32_e32 vcc_lo, 0, v48
	v_lshlrev_b64 v[9:10], 2, v[5:6]
	v_add_nc_u32_e32 v14, v15, v48
	v_and_b32_e32 v6, v11, v12
	v_cndmask_b32_e64 v13, 1, 2, vcc_lo
	v_cmp_eq_u32_e32 vcc_lo, 0, v46
	v_and_b32_e32 v75, v6, v13
	v_cndmask_b32_e64 v74, 1, 2, vcc_lo
	v_add_co_u32 v11, vcc_lo, s18, v2
	v_add_co_ci_u32_e64 v12, null, s19, v3, vcc_lo
	v_add_nc_u32_e32 v13, v14, v46
	v_add_co_u32 v72, vcc_lo, v11, v9
	v_add_co_ci_u32_e64 v73, null, v12, v10, vcc_lo
	v_cmp_eq_u32_e32 vcc_lo, 0, v44
	v_and_b32_e32 v11, v75, v74
	v_add_nc_u32_e32 v6, v13, v44
	v_cndmask_b32_e64 v12, 1, 2, vcc_lo
	v_cmp_eq_u32_e32 vcc_lo, 0, v61
	v_and_b32_e32 v11, v11, v12
	v_cndmask_b32_e64 v12, 1, 2, vcc_lo
	v_cmp_gt_u32_e32 vcc_lo, 0x100, v1
	v_and_b32_e32 v11, v11, v12
	v_cmp_gt_i16_e64 s15, 2, v11
	s_cbranch_vccz .LBB74_133
; %bb.127:
	s_and_saveexec_b32 s16, s15
	s_cbranch_execz .LBB74_132
; %bb.128:
	s_mov_b32 s17, 0
	s_mov_b32 s15, exec_lo
	v_cmpx_ne_u16_e32 1, v11
	s_xor_b32 s15, exec_lo, s15
	s_cbranch_execnz .LBB74_164
; %bb.129:
	s_andn2_saveexec_b32 s15, s15
	s_cbranch_execnz .LBB74_180
.LBB74_130:
	s_or_b32 exec_lo, exec_lo, s15
	s_and_b32 exec_lo, exec_lo, s17
	s_cbranch_execz .LBB74_132
.LBB74_131:
	v_sub_nc_u32_e32 v74, v6, v5
	v_mov_b32_e32 v75, 0
	v_lshlrev_b64 v[74:75], 2, v[74:75]
	v_add_co_u32 v74, vcc_lo, v72, v74
	v_add_co_ci_u32_e64 v75, null, v73, v75, vcc_lo
	global_store_dword v[74:75], v58, off
.LBB74_132:
	s_or_b32 exec_lo, exec_lo, s16
	s_mov_b32 s16, 0
.LBB74_133:
	s_and_b32 vcc_lo, exec_lo, s16
	s_cbranch_vccz .LBB74_143
; %bb.134:
	s_mov_b32 s15, exec_lo
	v_cmpx_gt_i16_e32 2, v11
	s_cbranch_execz .LBB74_139
; %bb.135:
	s_mov_b32 s17, 0
	s_mov_b32 s16, exec_lo
	v_cmpx_ne_u16_e32 1, v11
	s_xor_b32 s16, exec_lo, s16
	s_cbranch_execnz .LBB74_181
; %bb.136:
	s_andn2_saveexec_b32 s0, s16
	s_cbranch_execnz .LBB74_197
.LBB74_137:
	s_or_b32 exec_lo, exec_lo, s0
	s_and_b32 exec_lo, exec_lo, s17
.LBB74_138:
	v_sub_nc_u32_e32 v11, v6, v5
	v_lshlrev_b32_e32 v11, 2, v11
	ds_write_b32 v11, v58
.LBB74_139:
	s_or_b32 exec_lo, exec_lo, s15
	s_mov_b32 s1, exec_lo
	s_waitcnt lgkmcnt(0)
	s_waitcnt_vscnt null, 0x0
	s_barrier
	buffer_gl0_inv
	v_cmpx_lt_u32_e64 v0, v1
	s_cbranch_execz .LBB74_142
; %bb.140:
	v_lshlrev_b32_e32 v17, 2, v0
	v_mov_b32_e32 v12, 0
	v_mov_b32_e32 v11, v0
	s_mov_b32 s2, 0
	.p2align	6
.LBB74_141:                             ; =>This Inner Loop Header: Depth=1
	ds_read_b32 v20, v17
	v_lshlrev_b64 v[18:19], 2, v[11:12]
	v_add_nc_u32_e32 v11, 0x100, v11
	v_add_nc_u32_e32 v17, 0x400, v17
	v_cmp_ge_u32_e32 vcc_lo, v11, v1
	v_add_co_u32 v18, s0, v72, v18
	v_add_co_ci_u32_e64 v19, null, v73, v19, s0
	s_or_b32 s2, vcc_lo, s2
	s_waitcnt lgkmcnt(0)
	global_store_dword v[18:19], v20, off
	s_andn2_b32 exec_lo, exec_lo, s2
	s_cbranch_execnz .LBB74_141
.LBB74_142:
	s_or_b32 exec_lo, exec_lo, s1
.LBB74_143:
	s_cmpk_lg_i32 s27, 0xf00
	v_cmp_eq_u32_e32 vcc_lo, 0, v0
	s_cselect_b32 s0, -1, 0
	v_cndmask_b32_e64 v18, 0, 1, s33
	s_and_b32 s0, s26, s0
	v_mad_i32_i24 v17, v0, -15, s27
	v_cndmask_b32_e64 v12, 0, 1, s0
	s_mul_hi_u32 s0, s27, 0x88888889
	s_and_b32 s1, vcc_lo, s33
	s_lshr_b32 s0, s0, 3
	v_sub_nc_u32_e32 v11, v1, v18
	v_cndmask_b32_e64 v19, v43, 0, s1
	v_cmp_eq_u32_e32 vcc_lo, s0, v0
	v_cmp_ne_u32_e64 s0, 0, v17
	s_mov_b32 s16, -1
	v_add_nc_u32_e32 v11, v11, v12
	s_waitcnt_vscnt null, 0x0
	s_and_b32 vcc_lo, s26, vcc_lo
	v_cndmask_b32_e64 v12, 1, v19, s0
	v_cmp_ne_u32_e64 s0, 1, v17
	s_barrier
	buffer_gl0_inv
	v_cndmask_b32_e32 v19, v19, v12, vcc_lo
	v_cndmask_b32_e64 v20, 1, v57, s0
	v_cmp_ne_u32_e64 s0, 14, v17
	v_cmp_ne_u32_e64 s14, 0, v19
	v_cndmask_b32_e32 v20, v57, v20, vcc_lo
	v_cndmask_b32_e64 v21, 1, v61, s0
	v_cmp_ne_u32_e64 s0, 2, v17
	v_cmp_ne_u32_e64 s13, 0, v20
	v_cndmask_b32_e32 v21, v61, v21, vcc_lo
	v_cndmask_b32_e64 v22, 1, v56, s0
	v_cmp_ne_u32_e64 s0, 3, v17
	v_cndmask_b32_e32 v22, v56, v22, vcc_lo
	v_cndmask_b32_e64 v23, 1, v64, s0
	v_cmp_ne_u32_e64 s0, 4, v17
	v_cmp_ne_u32_e64 s12, 0, v22
	v_cndmask_b32_e32 v23, v64, v23, vcc_lo
	v_cndmask_b32_e64 v12, 1, v63, s0
	v_cmp_ne_u32_e64 s0, 5, v17
	v_cmp_ne_u32_e64 s11, 0, v23
	v_cndmask_b32_e32 v30, v63, v12, vcc_lo
	v_cndmask_b32_e64 v24, 1, v62, s0
	v_cmp_eq_u32_e64 s0, 0, v19
	v_cmp_ne_u32_e64 s10, 0, v30
	v_cndmask_b32_e32 v24, v62, v24, vcc_lo
	v_cndmask_b32_e64 v25, 1, 2, s0
	v_cmp_eq_u32_e64 s0, 0, v20
	v_cmp_ne_u32_e64 s9, 0, v24
	v_cndmask_b32_e64 v26, 1, 2, s0
	v_cmp_ne_u32_e64 s0, 6, v17
	v_and_b32_e32 v25, v26, v25
	v_cndmask_b32_e64 v27, 1, v60, s0
	v_cmp_eq_u32_e64 s0, 0, v22
	v_cndmask_b32_e32 v27, v60, v27, vcc_lo
	v_cndmask_b32_e64 v26, 1, 2, s0
	v_cmp_ne_u32_e64 s0, 7, v17
	v_cmp_ne_u32_e64 s8, 0, v27
	v_and_b32_e32 v25, v25, v26
	v_cndmask_b32_e64 v28, 1, v59, s0
	v_cmp_ne_u32_e64 s0, 8, v17
	v_cndmask_b32_e32 v28, v59, v28, vcc_lo
	v_cndmask_b32_e64 v29, 1, v54, s0
	v_cmp_eq_u32_e64 s0, 0, v23
	v_cmp_ne_u32_e64 s7, 0, v28
	v_cndmask_b32_e32 v29, v54, v29, vcc_lo
	v_cndmask_b32_e64 v26, 1, 2, s0
	v_cmp_ne_u32_e64 s0, 9, v17
	v_cmp_ne_u32_e64 s6, 0, v29
	v_and_b32_e32 v25, v25, v26
	v_cndmask_b32_e64 v12, 1, v52, s0
	v_cmp_eq_u32_e64 s0, 0, v30
	v_cndmask_b32_e64 v26, 1, 2, s0
	v_cmp_ne_u32_e64 s0, 10, v17
	v_and_b32_e32 v25, v25, v26
	v_cndmask_b32_e64 v43, 1, v50, s0
	v_cmp_ne_u32_e64 s0, 12, v17
	v_cndmask_b32_e32 v43, v50, v43, vcc_lo
	v_cndmask_b32_e64 v56, 1, v46, s0
	v_cmp_eq_u32_e64 s0, 0, v24
	v_cndmask_b32_e32 v50, v52, v12, vcc_lo
	v_cmp_ne_u32_e64 s4, 0, v43
	v_cndmask_b32_e32 v46, v46, v56, vcc_lo
	v_cndmask_b32_e64 v26, 1, 2, s0
	v_cmp_ne_u32_e64 s0, 13, v17
	v_cmp_ne_u32_e64 s5, 0, v50
	;; [unrolled: 1-line block ×3, first 2 shown]
	v_and_b32_e32 v25, v25, v26
	v_cndmask_b32_e64 v57, 1, v44, s0
	v_cmp_eq_u32_e64 s0, 0, v27
	v_cndmask_b32_e32 v44, v44, v57, vcc_lo
	v_cndmask_b32_e64 v26, 1, 2, s0
	v_cmp_ne_u32_e64 s0, 11, v17
	v_cmp_ne_u32_e64 s1, 0, v44
	v_and_b32_e32 v25, v25, v26
	v_cndmask_b32_e64 v17, 1, v48, s0
	v_cmp_eq_u32_e64 s0, 0, v28
	v_cndmask_b32_e32 v48, v48, v17, vcc_lo
	v_cmp_eq_u32_e32 vcc_lo, 0, v29
	v_cndmask_b32_e64 v26, 1, 2, s0
	v_cmp_ne_u32_e64 s0, 0, v21
	v_cmp_ne_u32_e64 s3, 0, v48
	v_cndmask_b32_e64 v17, 1, 2, vcc_lo
	v_add_co_u32 v2, vcc_lo, s28, v2
	v_and_b32_e32 v12, v25, v26
	v_add_co_ci_u32_e64 v3, null, s29, v3, vcc_lo
	v_cmp_eq_u32_e32 vcc_lo, 0, v50
	v_and_b32_e32 v12, v12, v17
	v_cndmask_b32_e64 v17, 1, 2, vcc_lo
	v_add_co_u32 v9, vcc_lo, v2, v9
	v_add_co_ci_u32_e64 v10, null, v3, v10, vcc_lo
	v_lshlrev_b32_e32 v2, 2, v18
	v_cmp_eq_u32_e32 vcc_lo, 0, v43
	v_and_b32_e32 v3, v12, v17
	v_cndmask_b32_e64 v12, 1, 2, vcc_lo
	v_add_co_u32 v2, vcc_lo, v9, v2
	v_add_co_ci_u32_e64 v17, null, 0, v10, vcc_lo
	v_cmp_eq_u32_e32 vcc_lo, 0, v48
	v_and_b32_e32 v3, v3, v12
	v_cndmask_b32_e64 v25, 1, 2, vcc_lo
	v_add_co_u32 v12, vcc_lo, v2, -4
	v_add_co_ci_u32_e64 v17, null, -1, v17, vcc_lo
	v_cmp_eq_u32_e32 vcc_lo, 0, v46
	v_add_nc_u32_e32 v2, v5, v18
	v_and_b32_e32 v3, v3, v25
	v_cndmask_b32_e64 v18, 1, 2, vcc_lo
	v_cmp_eq_u32_e32 vcc_lo, 0, v44
	v_and_b32_e32 v3, v3, v18
	v_cndmask_b32_e64 v18, 1, 2, vcc_lo
	v_cmp_eq_u32_e32 vcc_lo, 0, v21
	v_and_b32_e32 v3, v3, v18
	v_cndmask_b32_e64 v18, 1, 2, vcc_lo
	v_cmp_gt_u32_e32 vcc_lo, 0x100, v11
	v_and_b32_e32 v3, v3, v18
	v_cmp_gt_i16_e64 s15, 2, v3
	s_cbranch_vccnz .LBB74_147
; %bb.144:
	s_and_b32 vcc_lo, exec_lo, s16
	s_cbranch_vccnz .LBB74_153
.LBB74_145:
	v_cmp_eq_u32_e32 vcc_lo, 0xff, v0
	s_and_b32 s0, vcc_lo, s26
	s_and_saveexec_b32 s1, s0
	s_cbranch_execnz .LBB74_162
.LBB74_146:
	s_endpgm
.LBB74_147:
	s_and_saveexec_b32 s16, s15
	s_cbranch_execz .LBB74_152
; %bb.148:
	s_mov_b32 s17, 0
	s_mov_b32 s15, exec_lo
	v_cmpx_ne_u16_e32 1, v3
	s_xor_b32 s15, exec_lo, s15
	s_cbranch_execnz .LBB74_198
; %bb.149:
	s_andn2_saveexec_b32 s15, s15
	s_cbranch_execnz .LBB74_214
.LBB74_150:
	s_or_b32 exec_lo, exec_lo, s15
	s_and_b32 exec_lo, exec_lo, s17
	s_cbranch_execz .LBB74_152
.LBB74_151:
	v_sub_nc_u32_e32 v18, v6, v2
	v_mov_b32_e32 v19, 0
	v_lshlrev_b64 v[18:19], 2, v[18:19]
	v_add_co_u32 v18, vcc_lo, v12, v18
	v_add_co_ci_u32_e64 v19, null, v17, v19, vcc_lo
	global_store_dword v[18:19], v42, off
.LBB74_152:
	s_or_b32 exec_lo, exec_lo, s16
	s_branch .LBB74_145
.LBB74_153:
	s_mov_b32 s15, exec_lo
	v_cmpx_gt_i16_e32 2, v3
	s_cbranch_execz .LBB74_158
; %bb.154:
	s_mov_b32 s17, 0
	s_mov_b32 s16, exec_lo
	v_cmpx_ne_u16_e32 1, v3
	s_xor_b32 s16, exec_lo, s16
	s_cbranch_execnz .LBB74_215
; %bb.155:
	s_andn2_saveexec_b32 s0, s16
	s_cbranch_execnz .LBB74_231
.LBB74_156:
	s_or_b32 exec_lo, exec_lo, s0
	s_and_b32 exec_lo, exec_lo, s17
.LBB74_157:
	v_sub_nc_u32_e32 v2, v6, v2
	v_lshlrev_b32_e32 v2, 2, v2
	ds_write_b32 v2, v42
.LBB74_158:
	s_or_b32 exec_lo, exec_lo, s15
	s_mov_b32 s1, exec_lo
	s_waitcnt lgkmcnt(0)
	s_waitcnt_vscnt null, 0x0
	s_barrier
	buffer_gl0_inv
	v_cmpx_lt_u32_e64 v0, v11
	s_cbranch_execz .LBB74_161
; %bb.159:
	v_lshlrev_b32_e32 v4, 2, v0
	v_mov_b32_e32 v3, 0
	v_mov_b32_e32 v2, v0
	s_mov_b32 s2, 0
	.p2align	6
.LBB74_160:                             ; =>This Inner Loop Header: Depth=1
	ds_read_b32 v6, v4
	v_lshlrev_b64 v[13:14], 2, v[2:3]
	v_add_nc_u32_e32 v2, 0x100, v2
	v_add_nc_u32_e32 v4, 0x400, v4
	v_cmp_ge_u32_e32 vcc_lo, v2, v11
	v_add_co_u32 v13, s0, v12, v13
	v_add_co_ci_u32_e64 v14, null, v17, v14, s0
	s_or_b32 s2, vcc_lo, s2
	s_waitcnt lgkmcnt(0)
	global_store_dword v[13:14], v6, off
	s_andn2_b32 exec_lo, exec_lo, s2
	s_cbranch_execnz .LBB74_160
.LBB74_161:
	s_or_b32 exec_lo, exec_lo, s1
	v_cmp_eq_u32_e32 vcc_lo, 0xff, v0
	s_and_b32 s0, vcc_lo, s26
	s_and_saveexec_b32 s1, s0
	s_cbranch_execz .LBB74_146
.LBB74_162:
	v_add_co_u32 v0, s0, v1, v5
	v_add_co_ci_u32_e64 v4, null, 0, 0, s0
	v_mov_b32_e32 v2, 0
	v_add_co_u32 v3, vcc_lo, v0, v7
	v_add_co_ci_u32_e64 v4, null, v4, v8, vcc_lo
	s_cmpk_lg_i32 s27, 0xf00
	global_store_dwordx2 v2, v[3:4], s[30:31]
	s_cbranch_scc1 .LBB74_146
; %bb.163:
	v_lshlrev_b64 v[0:1], 2, v[1:2]
	v_add_co_u32 v0, vcc_lo, v9, v0
	v_add_co_ci_u32_e64 v1, null, v10, v1, vcc_lo
	global_store_dword v[0:1], v37, off offset:-4
	s_endpgm
.LBB74_164:
	s_and_saveexec_b32 s17, s12
	s_cbranch_execnz .LBB74_232
; %bb.165:
	s_or_b32 exec_lo, exec_lo, s17
	s_and_saveexec_b32 s17, s11
	s_cbranch_execnz .LBB74_233
.LBB74_166:
	s_or_b32 exec_lo, exec_lo, s17
	s_and_saveexec_b32 s17, s9
	s_cbranch_execnz .LBB74_234
.LBB74_167:
	s_or_b32 exec_lo, exec_lo, s17
	s_and_saveexec_b32 s17, s8
	s_cbranch_execnz .LBB74_235
.LBB74_168:
	s_or_b32 exec_lo, exec_lo, s17
	s_and_saveexec_b32 s17, s14
	s_cbranch_execnz .LBB74_236
.LBB74_169:
	s_or_b32 exec_lo, exec_lo, s17
	s_and_saveexec_b32 s17, s13
	s_cbranch_execnz .LBB74_237
.LBB74_170:
	s_or_b32 exec_lo, exec_lo, s17
	s_and_saveexec_b32 s17, s10
	s_cbranch_execnz .LBB74_238
.LBB74_171:
	s_or_b32 exec_lo, exec_lo, s17
	s_and_saveexec_b32 s17, s7
	s_cbranch_execnz .LBB74_239
.LBB74_172:
	s_or_b32 exec_lo, exec_lo, s17
	s_and_saveexec_b32 s17, s6
	s_cbranch_execnz .LBB74_240
.LBB74_173:
	s_or_b32 exec_lo, exec_lo, s17
	s_and_saveexec_b32 s17, s5
	s_cbranch_execnz .LBB74_241
.LBB74_174:
	s_or_b32 exec_lo, exec_lo, s17
	s_and_saveexec_b32 s17, s4
	s_cbranch_execnz .LBB74_242
.LBB74_175:
	s_or_b32 exec_lo, exec_lo, s17
	s_and_saveexec_b32 s17, s3
	s_cbranch_execnz .LBB74_243
.LBB74_176:
	s_or_b32 exec_lo, exec_lo, s17
	s_and_saveexec_b32 s17, s2
	s_cbranch_execnz .LBB74_244
.LBB74_177:
	s_or_b32 exec_lo, exec_lo, s17
	s_and_saveexec_b32 s17, s1
	s_cbranch_execz .LBB74_179
.LBB74_178:
	v_sub_nc_u32_e32 v74, v13, v5
	v_mov_b32_e32 v75, 0
	v_lshlrev_b64 v[74:75], 2, v[74:75]
	v_add_co_u32 v74, vcc_lo, v72, v74
	v_add_co_ci_u32_e64 v75, null, v73, v75, vcc_lo
	global_store_dword v[74:75], v18, off
.LBB74_179:
	s_or_b32 exec_lo, exec_lo, s17
	s_and_b32 s17, s0, exec_lo
	s_andn2_saveexec_b32 s15, s15
	s_cbranch_execz .LBB74_130
.LBB74_180:
	v_sub_nc_u32_e32 v74, v4, v5
	v_mov_b32_e32 v75, 0
	s_or_b32 s17, s17, exec_lo
	v_lshlrev_b64 v[76:77], 2, v[74:75]
	v_sub_nc_u32_e32 v74, v65, v5
	v_lshlrev_b64 v[78:79], 2, v[74:75]
	v_sub_nc_u32_e32 v74, v71, v5
	v_add_co_u32 v76, vcc_lo, v72, v76
	v_add_co_ci_u32_e64 v77, null, v73, v77, vcc_lo
	v_lshlrev_b64 v[80:81], 2, v[74:75]
	v_sub_nc_u32_e32 v74, v70, v5
	v_add_co_u32 v78, vcc_lo, v72, v78
	v_add_co_ci_u32_e64 v79, null, v73, v79, vcc_lo
	global_store_dword v[76:77], v29, off
	v_lshlrev_b64 v[76:77], 2, v[74:75]
	v_sub_nc_u32_e32 v74, v36, v5
	global_store_dword v[78:79], v30, off
	v_add_co_u32 v78, vcc_lo, v72, v80
	v_add_co_ci_u32_e64 v79, null, v73, v81, vcc_lo
	v_lshlrev_b64 v[80:81], 2, v[74:75]
	v_sub_nc_u32_e32 v74, v35, v5
	v_add_co_u32 v76, vcc_lo, v72, v76
	v_add_co_ci_u32_e64 v77, null, v73, v77, vcc_lo
	v_lshlrev_b64 v[82:83], 2, v[74:75]
	v_sub_nc_u32_e32 v74, v34, v5
	;; [unrolled: 4-line block ×3, first 2 shown]
	v_add_co_u32 v82, vcc_lo, v72, v82
	v_add_co_ci_u32_e64 v83, null, v73, v83, vcc_lo
	global_store_dword v[78:79], v27, off
	global_store_dword v[76:77], v28, off
	;; [unrolled: 1-line block ×4, first 2 shown]
	v_lshlrev_b64 v[76:77], 2, v[74:75]
	v_sub_nc_u32_e32 v74, v32, v5
	v_add_co_u32 v78, vcc_lo, v72, v84
	v_add_co_ci_u32_e64 v79, null, v73, v85, vcc_lo
	v_lshlrev_b64 v[80:81], 2, v[74:75]
	v_sub_nc_u32_e32 v74, v31, v5
	v_add_co_u32 v76, vcc_lo, v72, v76
	v_add_co_ci_u32_e64 v77, null, v73, v77, vcc_lo
	;; [unrolled: 4-line block ×4, first 2 shown]
	global_store_dword v[78:79], v23, off
	global_store_dword v[76:77], v24, off
	;; [unrolled: 1-line block ×4, first 2 shown]
	v_lshlrev_b64 v[76:77], 2, v[74:75]
	v_sub_nc_u32_e32 v74, v14, v5
	v_add_co_u32 v78, vcc_lo, v72, v84
	v_add_co_ci_u32_e64 v79, null, v73, v85, vcc_lo
	v_lshlrev_b64 v[80:81], 2, v[74:75]
	v_sub_nc_u32_e32 v74, v13, v5
	v_add_co_u32 v76, vcc_lo, v72, v76
	v_add_co_ci_u32_e64 v77, null, v73, v77, vcc_lo
	v_lshlrev_b64 v[74:75], 2, v[74:75]
	v_add_co_u32 v80, vcc_lo, v72, v80
	v_add_co_ci_u32_e64 v81, null, v73, v81, vcc_lo
	global_store_dword v[78:79], v19, off
	global_store_dword v[76:77], v20, off
	;; [unrolled: 1-line block ×3, first 2 shown]
	v_add_co_u32 v74, vcc_lo, v72, v74
	v_add_co_ci_u32_e64 v75, null, v73, v75, vcc_lo
	global_store_dword v[74:75], v18, off
	s_or_b32 exec_lo, exec_lo, s15
	s_and_b32 exec_lo, exec_lo, s17
	s_cbranch_execnz .LBB74_131
	s_branch .LBB74_132
.LBB74_181:
	s_and_saveexec_b32 s17, s12
	s_cbranch_execnz .LBB74_245
; %bb.182:
	s_or_b32 exec_lo, exec_lo, s17
	s_and_saveexec_b32 s12, s11
	s_cbranch_execnz .LBB74_246
.LBB74_183:
	s_or_b32 exec_lo, exec_lo, s12
	s_and_saveexec_b32 s11, s9
	s_cbranch_execnz .LBB74_247
.LBB74_184:
	s_or_b32 exec_lo, exec_lo, s11
	s_and_saveexec_b32 s9, s8
	s_cbranch_execnz .LBB74_248
.LBB74_185:
	s_or_b32 exec_lo, exec_lo, s9
	s_and_saveexec_b32 s8, s14
	s_cbranch_execnz .LBB74_249
.LBB74_186:
	s_or_b32 exec_lo, exec_lo, s8
	s_and_saveexec_b32 s8, s13
	s_cbranch_execnz .LBB74_250
.LBB74_187:
	s_or_b32 exec_lo, exec_lo, s8
	s_and_saveexec_b32 s8, s10
	s_cbranch_execnz .LBB74_251
.LBB74_188:
	s_or_b32 exec_lo, exec_lo, s8
	s_and_saveexec_b32 s8, s7
	s_cbranch_execnz .LBB74_252
.LBB74_189:
	s_or_b32 exec_lo, exec_lo, s8
	s_and_saveexec_b32 s7, s6
	s_cbranch_execnz .LBB74_253
.LBB74_190:
	s_or_b32 exec_lo, exec_lo, s7
	s_and_saveexec_b32 s6, s5
	s_cbranch_execnz .LBB74_254
.LBB74_191:
	s_or_b32 exec_lo, exec_lo, s6
	s_and_saveexec_b32 s5, s4
	s_cbranch_execnz .LBB74_255
.LBB74_192:
	s_or_b32 exec_lo, exec_lo, s5
	s_and_saveexec_b32 s4, s3
	s_cbranch_execnz .LBB74_256
.LBB74_193:
	s_or_b32 exec_lo, exec_lo, s4
	s_and_saveexec_b32 s3, s2
	s_cbranch_execnz .LBB74_257
.LBB74_194:
	s_or_b32 exec_lo, exec_lo, s3
	s_and_saveexec_b32 s2, s1
.LBB74_195:
	v_sub_nc_u32_e32 v11, v13, v5
	v_lshlrev_b32_e32 v11, 2, v11
	ds_write_b32 v11, v18
.LBB74_196:
	s_or_b32 exec_lo, exec_lo, s2
	s_and_b32 s17, s0, exec_lo
                                        ; implicit-def: $vgpr29
                                        ; implicit-def: $vgpr27
                                        ; implicit-def: $vgpr25
                                        ; implicit-def: $vgpr23
                                        ; implicit-def: $vgpr21
                                        ; implicit-def: $vgpr19
                                        ; implicit-def: $vgpr17
	s_andn2_saveexec_b32 s0, s16
	s_cbranch_execz .LBB74_137
.LBB74_197:
	v_sub_nc_u32_e32 v11, v4, v5
	v_sub_nc_u32_e32 v12, v65, v5
	;; [unrolled: 1-line block ×4, first 2 shown]
	s_or_b32 s17, s17, exec_lo
	v_lshlrev_b32_e32 v11, 2, v11
	v_lshlrev_b32_e32 v12, 2, v12
	v_lshlrev_b32_e32 v74, 2, v74
	v_lshlrev_b32_e32 v75, 2, v75
	ds_write_b32 v11, v29
	ds_write_b32 v12, v30
	;; [unrolled: 1-line block ×3, first 2 shown]
	v_sub_nc_u32_e32 v11, v36, v5
	v_sub_nc_u32_e32 v12, v35, v5
	;; [unrolled: 1-line block ×3, first 2 shown]
	ds_write_b32 v75, v28
	v_sub_nc_u32_e32 v28, v33, v5
	v_lshlrev_b32_e32 v11, 2, v11
	v_sub_nc_u32_e32 v29, v32, v5
	v_lshlrev_b32_e32 v12, 2, v12
	v_lshlrev_b32_e32 v27, 2, v27
	v_lshlrev_b32_e32 v28, 2, v28
	ds_write_b32 v11, v25
	v_lshlrev_b32_e32 v11, 2, v29
	ds_write_b32 v12, v26
	ds_write_b32 v27, v23
	;; [unrolled: 1-line block ×3, first 2 shown]
	v_sub_nc_u32_e32 v12, v31, v5
	v_sub_nc_u32_e32 v24, v13, v5
	;; [unrolled: 1-line block ×3, first 2 shown]
	ds_write_b32 v11, v21
	v_sub_nc_u32_e32 v11, v16, v5
	v_lshlrev_b32_e32 v12, 2, v12
	v_sub_nc_u32_e32 v21, v15, v5
	v_lshlrev_b32_e32 v23, 2, v23
	v_lshlrev_b32_e32 v11, 2, v11
	ds_write_b32 v12, v22
	v_lshlrev_b32_e32 v12, 2, v24
	v_lshlrev_b32_e32 v21, 2, v21
	ds_write_b32 v11, v19
	ds_write_b32 v21, v20
	;; [unrolled: 1-line block ×4, first 2 shown]
	s_or_b32 exec_lo, exec_lo, s0
	s_and_b32 exec_lo, exec_lo, s17
	s_cbranch_execnz .LBB74_138
	s_branch .LBB74_139
.LBB74_198:
	s_and_saveexec_b32 s17, s14
	s_cbranch_execnz .LBB74_258
; %bb.199:
	s_or_b32 exec_lo, exec_lo, s17
	s_and_saveexec_b32 s17, s13
	s_cbranch_execnz .LBB74_259
.LBB74_200:
	s_or_b32 exec_lo, exec_lo, s17
	s_and_saveexec_b32 s17, s12
	s_cbranch_execnz .LBB74_260
.LBB74_201:
	s_or_b32 exec_lo, exec_lo, s17
	s_and_saveexec_b32 s17, s11
	s_cbranch_execnz .LBB74_261
.LBB74_202:
	s_or_b32 exec_lo, exec_lo, s17
	s_and_saveexec_b32 s17, s10
	s_cbranch_execnz .LBB74_262
.LBB74_203:
	s_or_b32 exec_lo, exec_lo, s17
	s_and_saveexec_b32 s17, s9
	s_cbranch_execnz .LBB74_263
.LBB74_204:
	s_or_b32 exec_lo, exec_lo, s17
	s_and_saveexec_b32 s17, s8
	s_cbranch_execnz .LBB74_264
.LBB74_205:
	s_or_b32 exec_lo, exec_lo, s17
	s_and_saveexec_b32 s17, s7
	s_cbranch_execnz .LBB74_265
.LBB74_206:
	s_or_b32 exec_lo, exec_lo, s17
	s_and_saveexec_b32 s17, s6
	s_cbranch_execnz .LBB74_266
.LBB74_207:
	s_or_b32 exec_lo, exec_lo, s17
	s_and_saveexec_b32 s17, s5
	s_cbranch_execnz .LBB74_267
.LBB74_208:
	s_or_b32 exec_lo, exec_lo, s17
	s_and_saveexec_b32 s17, s4
	s_cbranch_execnz .LBB74_268
.LBB74_209:
	s_or_b32 exec_lo, exec_lo, s17
	s_and_saveexec_b32 s17, s3
	s_cbranch_execnz .LBB74_269
.LBB74_210:
	s_or_b32 exec_lo, exec_lo, s17
	s_and_saveexec_b32 s17, s2
	s_cbranch_execnz .LBB74_270
.LBB74_211:
	s_or_b32 exec_lo, exec_lo, s17
	s_and_saveexec_b32 s17, s1
	s_cbranch_execz .LBB74_213
.LBB74_212:
	v_sub_nc_u32_e32 v18, v13, v2
	v_mov_b32_e32 v19, 0
	v_lshlrev_b64 v[18:19], 2, v[18:19]
	v_add_co_u32 v18, vcc_lo, v12, v18
	v_add_co_ci_u32_e64 v19, null, v17, v19, vcc_lo
	global_store_dword v[18:19], v38, off
.LBB74_213:
	s_or_b32 exec_lo, exec_lo, s17
	s_and_b32 s17, s0, exec_lo
	s_andn2_saveexec_b32 s15, s15
	s_cbranch_execz .LBB74_150
.LBB74_214:
	v_sub_nc_u32_e32 v18, v4, v2
	v_mov_b32_e32 v19, 0
	s_or_b32 s17, s17, exec_lo
	v_lshlrev_b64 v[20:21], 2, v[18:19]
	v_sub_nc_u32_e32 v18, v65, v2
	v_lshlrev_b64 v[22:23], 2, v[18:19]
	v_sub_nc_u32_e32 v18, v71, v2
	v_add_co_u32 v20, vcc_lo, v12, v20
	v_add_co_ci_u32_e64 v21, null, v17, v21, vcc_lo
	v_lshlrev_b64 v[24:25], 2, v[18:19]
	v_sub_nc_u32_e32 v18, v70, v2
	v_add_co_u32 v22, vcc_lo, v12, v22
	v_add_co_ci_u32_e64 v23, null, v17, v23, vcc_lo
	global_store_dword v[20:21], v68, off
	v_lshlrev_b64 v[20:21], 2, v[18:19]
	v_sub_nc_u32_e32 v18, v36, v2
	global_store_dword v[22:23], v66, off
	v_add_co_u32 v22, vcc_lo, v12, v24
	v_add_co_ci_u32_e64 v23, null, v17, v25, vcc_lo
	v_lshlrev_b64 v[24:25], 2, v[18:19]
	v_sub_nc_u32_e32 v18, v35, v2
	v_add_co_u32 v20, vcc_lo, v12, v20
	v_add_co_ci_u32_e64 v21, null, v17, v21, vcc_lo
	v_lshlrev_b64 v[26:27], 2, v[18:19]
	v_sub_nc_u32_e32 v18, v34, v2
	;; [unrolled: 4-line block ×3, first 2 shown]
	v_add_co_u32 v26, vcc_lo, v12, v26
	v_add_co_ci_u32_e64 v27, null, v17, v27, vcc_lo
	global_store_dword v[22:23], v69, off
	global_store_dword v[20:21], v67, off
	;; [unrolled: 1-line block ×4, first 2 shown]
	v_lshlrev_b64 v[20:21], 2, v[18:19]
	v_sub_nc_u32_e32 v18, v32, v2
	v_add_co_u32 v22, vcc_lo, v12, v28
	v_add_co_ci_u32_e64 v23, null, v17, v29, vcc_lo
	v_lshlrev_b64 v[24:25], 2, v[18:19]
	v_sub_nc_u32_e32 v18, v31, v2
	v_add_co_u32 v20, vcc_lo, v12, v20
	v_add_co_ci_u32_e64 v21, null, v17, v21, vcc_lo
	;; [unrolled: 4-line block ×4, first 2 shown]
	global_store_dword v[22:23], v51, off
	global_store_dword v[20:21], v49, off
	;; [unrolled: 1-line block ×4, first 2 shown]
	v_lshlrev_b64 v[20:21], 2, v[18:19]
	v_sub_nc_u32_e32 v18, v14, v2
	v_add_co_u32 v22, vcc_lo, v12, v28
	v_add_co_ci_u32_e64 v23, null, v17, v29, vcc_lo
	v_lshlrev_b64 v[24:25], 2, v[18:19]
	v_sub_nc_u32_e32 v18, v13, v2
	v_add_co_u32 v20, vcc_lo, v12, v20
	v_add_co_ci_u32_e64 v21, null, v17, v21, vcc_lo
	v_lshlrev_b64 v[18:19], 2, v[18:19]
	v_add_co_u32 v24, vcc_lo, v12, v24
	v_add_co_ci_u32_e64 v25, null, v17, v25, vcc_lo
	global_store_dword v[22:23], v41, off
	global_store_dword v[20:21], v39, off
	;; [unrolled: 1-line block ×3, first 2 shown]
	v_add_co_u32 v18, vcc_lo, v12, v18
	v_add_co_ci_u32_e64 v19, null, v17, v19, vcc_lo
	global_store_dword v[18:19], v38, off
	s_or_b32 exec_lo, exec_lo, s15
	s_and_b32 exec_lo, exec_lo, s17
	s_cbranch_execnz .LBB74_151
	s_branch .LBB74_152
.LBB74_215:
	s_and_saveexec_b32 s17, s14
	s_cbranch_execnz .LBB74_271
; %bb.216:
	s_or_b32 exec_lo, exec_lo, s17
	s_and_saveexec_b32 s14, s13
	s_cbranch_execnz .LBB74_272
.LBB74_217:
	s_or_b32 exec_lo, exec_lo, s14
	s_and_saveexec_b32 s13, s12
	s_cbranch_execnz .LBB74_273
.LBB74_218:
	s_or_b32 exec_lo, exec_lo, s13
	s_and_saveexec_b32 s12, s11
	s_cbranch_execnz .LBB74_274
.LBB74_219:
	s_or_b32 exec_lo, exec_lo, s12
	s_and_saveexec_b32 s11, s10
	s_cbranch_execnz .LBB74_275
.LBB74_220:
	s_or_b32 exec_lo, exec_lo, s11
	s_and_saveexec_b32 s10, s9
	s_cbranch_execnz .LBB74_276
.LBB74_221:
	s_or_b32 exec_lo, exec_lo, s10
	s_and_saveexec_b32 s9, s8
	s_cbranch_execnz .LBB74_277
.LBB74_222:
	s_or_b32 exec_lo, exec_lo, s9
	s_and_saveexec_b32 s8, s7
	s_cbranch_execnz .LBB74_278
.LBB74_223:
	s_or_b32 exec_lo, exec_lo, s8
	s_and_saveexec_b32 s7, s6
	s_cbranch_execnz .LBB74_279
.LBB74_224:
	s_or_b32 exec_lo, exec_lo, s7
	s_and_saveexec_b32 s6, s5
	s_cbranch_execnz .LBB74_280
.LBB74_225:
	s_or_b32 exec_lo, exec_lo, s6
	s_and_saveexec_b32 s5, s4
	s_cbranch_execnz .LBB74_281
.LBB74_226:
	s_or_b32 exec_lo, exec_lo, s5
	s_and_saveexec_b32 s4, s3
	s_cbranch_execnz .LBB74_282
.LBB74_227:
	s_or_b32 exec_lo, exec_lo, s4
	s_and_saveexec_b32 s3, s2
	s_cbranch_execnz .LBB74_283
.LBB74_228:
	s_or_b32 exec_lo, exec_lo, s3
	s_and_saveexec_b32 s2, s1
.LBB74_229:
	v_sub_nc_u32_e32 v3, v13, v2
	v_lshlrev_b32_e32 v3, 2, v3
	ds_write_b32 v3, v38
.LBB74_230:
	s_or_b32 exec_lo, exec_lo, s2
	s_and_b32 s17, s0, exec_lo
                                        ; implicit-def: $vgpr68
                                        ; implicit-def: $vgpr66
                                        ; implicit-def: $vgpr38
                                        ; implicit-def: $vgpr40
                                        ; implicit-def: $vgpr39
                                        ; implicit-def: $vgpr41
                                        ; implicit-def: $vgpr45
                                        ; implicit-def: $vgpr47
                                        ; implicit-def: $vgpr49
                                        ; implicit-def: $vgpr51
                                        ; implicit-def: $vgpr53
                                        ; implicit-def: $vgpr55
                                        ; implicit-def: $vgpr67
                                        ; implicit-def: $vgpr69
                                        ; implicit-def: $vgpr65
                                        ; implicit-def: $vgpr71
                                        ; implicit-def: $vgpr70
                                        ; implicit-def: $vgpr36
                                        ; implicit-def: $vgpr35
                                        ; implicit-def: $vgpr34
                                        ; implicit-def: $vgpr33
                                        ; implicit-def: $vgpr32
                                        ; implicit-def: $vgpr31
                                        ; implicit-def: $vgpr16
                                        ; implicit-def: $vgpr15
                                        ; implicit-def: $vgpr14
                                        ; implicit-def: $vgpr13
	s_andn2_saveexec_b32 s0, s16
	s_cbranch_execz .LBB74_156
.LBB74_231:
	v_sub_nc_u32_e32 v3, v4, v2
	v_sub_nc_u32_e32 v4, v65, v2
	;; [unrolled: 1-line block ×5, first 2 shown]
	v_lshlrev_b32_e32 v3, 2, v3
	v_lshlrev_b32_e32 v4, 2, v4
	;; [unrolled: 1-line block ×4, first 2 shown]
	v_sub_nc_u32_e32 v13, v13, v2
	ds_write_b32 v3, v68
	ds_write_b32 v4, v66
	;; [unrolled: 1-line block ×3, first 2 shown]
	v_sub_nc_u32_e32 v3, v36, v2
	v_sub_nc_u32_e32 v4, v35, v2
	;; [unrolled: 1-line block ×3, first 2 shown]
	ds_write_b32 v19, v67
	v_sub_nc_u32_e32 v19, v33, v2
	v_lshlrev_b32_e32 v3, 2, v3
	v_lshlrev_b32_e32 v4, 2, v4
	;; [unrolled: 1-line block ×3, first 2 shown]
	v_sub_nc_u32_e32 v15, v15, v2
	v_lshlrev_b32_e32 v19, 2, v19
	ds_write_b32 v3, v55
	v_lshlrev_b32_e32 v3, 2, v20
	ds_write_b32 v4, v53
	ds_write_b32 v18, v51
	;; [unrolled: 1-line block ×3, first 2 shown]
	v_sub_nc_u32_e32 v4, v31, v2
	v_sub_nc_u32_e32 v14, v14, v2
	v_lshlrev_b32_e32 v15, 2, v15
	ds_write_b32 v3, v47
	v_sub_nc_u32_e32 v3, v16, v2
	v_lshlrev_b32_e32 v4, 2, v4
	v_lshlrev_b32_e32 v14, 2, v14
	s_or_b32 s17, s17, exec_lo
	v_lshlrev_b32_e32 v3, 2, v3
	ds_write_b32 v4, v45
	v_lshlrev_b32_e32 v4, 2, v13
	ds_write_b32 v3, v41
	ds_write_b32 v15, v39
	;; [unrolled: 1-line block ×4, first 2 shown]
	s_or_b32 exec_lo, exec_lo, s0
	s_and_b32 exec_lo, exec_lo, s17
	s_cbranch_execnz .LBB74_157
	s_branch .LBB74_158
.LBB74_232:
	v_sub_nc_u32_e32 v74, v4, v5
	v_mov_b32_e32 v75, 0
	v_lshlrev_b64 v[74:75], 2, v[74:75]
	v_add_co_u32 v74, vcc_lo, v72, v74
	v_add_co_ci_u32_e64 v75, null, v73, v75, vcc_lo
	global_store_dword v[74:75], v29, off
	s_or_b32 exec_lo, exec_lo, s17
	s_and_saveexec_b32 s17, s11
	s_cbranch_execz .LBB74_166
.LBB74_233:
	v_sub_nc_u32_e32 v74, v65, v5
	v_mov_b32_e32 v75, 0
	v_lshlrev_b64 v[74:75], 2, v[74:75]
	v_add_co_u32 v74, vcc_lo, v72, v74
	v_add_co_ci_u32_e64 v75, null, v73, v75, vcc_lo
	global_store_dword v[74:75], v30, off
	s_or_b32 exec_lo, exec_lo, s17
	s_and_saveexec_b32 s17, s9
	s_cbranch_execz .LBB74_167
.LBB74_234:
	v_sub_nc_u32_e32 v74, v71, v5
	v_mov_b32_e32 v75, 0
	v_lshlrev_b64 v[74:75], 2, v[74:75]
	v_add_co_u32 v74, vcc_lo, v72, v74
	v_add_co_ci_u32_e64 v75, null, v73, v75, vcc_lo
	global_store_dword v[74:75], v27, off
	s_or_b32 exec_lo, exec_lo, s17
	s_and_saveexec_b32 s17, s8
	s_cbranch_execz .LBB74_168
.LBB74_235:
	v_sub_nc_u32_e32 v74, v70, v5
	v_mov_b32_e32 v75, 0
	v_lshlrev_b64 v[74:75], 2, v[74:75]
	v_add_co_u32 v74, vcc_lo, v72, v74
	v_add_co_ci_u32_e64 v75, null, v73, v75, vcc_lo
	global_store_dword v[74:75], v28, off
	s_or_b32 exec_lo, exec_lo, s17
	s_and_saveexec_b32 s17, s14
	s_cbranch_execz .LBB74_169
.LBB74_236:
	v_sub_nc_u32_e32 v74, v36, v5
	v_mov_b32_e32 v75, 0
	v_lshlrev_b64 v[74:75], 2, v[74:75]
	v_add_co_u32 v74, vcc_lo, v72, v74
	v_add_co_ci_u32_e64 v75, null, v73, v75, vcc_lo
	global_store_dword v[74:75], v25, off
	s_or_b32 exec_lo, exec_lo, s17
	s_and_saveexec_b32 s17, s13
	s_cbranch_execz .LBB74_170
.LBB74_237:
	v_sub_nc_u32_e32 v74, v35, v5
	v_mov_b32_e32 v75, 0
	v_lshlrev_b64 v[74:75], 2, v[74:75]
	v_add_co_u32 v74, vcc_lo, v72, v74
	v_add_co_ci_u32_e64 v75, null, v73, v75, vcc_lo
	global_store_dword v[74:75], v26, off
	s_or_b32 exec_lo, exec_lo, s17
	s_and_saveexec_b32 s17, s10
	s_cbranch_execz .LBB74_171
.LBB74_238:
	v_sub_nc_u32_e32 v74, v34, v5
	v_mov_b32_e32 v75, 0
	v_lshlrev_b64 v[74:75], 2, v[74:75]
	v_add_co_u32 v74, vcc_lo, v72, v74
	v_add_co_ci_u32_e64 v75, null, v73, v75, vcc_lo
	global_store_dword v[74:75], v23, off
	s_or_b32 exec_lo, exec_lo, s17
	s_and_saveexec_b32 s17, s7
	s_cbranch_execz .LBB74_172
.LBB74_239:
	v_sub_nc_u32_e32 v74, v33, v5
	v_mov_b32_e32 v75, 0
	v_lshlrev_b64 v[74:75], 2, v[74:75]
	v_add_co_u32 v74, vcc_lo, v72, v74
	v_add_co_ci_u32_e64 v75, null, v73, v75, vcc_lo
	global_store_dword v[74:75], v24, off
	s_or_b32 exec_lo, exec_lo, s17
	s_and_saveexec_b32 s17, s6
	s_cbranch_execz .LBB74_173
.LBB74_240:
	v_sub_nc_u32_e32 v74, v32, v5
	v_mov_b32_e32 v75, 0
	v_lshlrev_b64 v[74:75], 2, v[74:75]
	v_add_co_u32 v74, vcc_lo, v72, v74
	v_add_co_ci_u32_e64 v75, null, v73, v75, vcc_lo
	global_store_dword v[74:75], v21, off
	s_or_b32 exec_lo, exec_lo, s17
	s_and_saveexec_b32 s17, s5
	s_cbranch_execz .LBB74_174
.LBB74_241:
	v_sub_nc_u32_e32 v74, v31, v5
	v_mov_b32_e32 v75, 0
	v_lshlrev_b64 v[74:75], 2, v[74:75]
	v_add_co_u32 v74, vcc_lo, v72, v74
	v_add_co_ci_u32_e64 v75, null, v73, v75, vcc_lo
	global_store_dword v[74:75], v22, off
	s_or_b32 exec_lo, exec_lo, s17
	s_and_saveexec_b32 s17, s4
	s_cbranch_execz .LBB74_175
.LBB74_242:
	v_sub_nc_u32_e32 v74, v16, v5
	v_mov_b32_e32 v75, 0
	v_lshlrev_b64 v[74:75], 2, v[74:75]
	v_add_co_u32 v74, vcc_lo, v72, v74
	v_add_co_ci_u32_e64 v75, null, v73, v75, vcc_lo
	global_store_dword v[74:75], v19, off
	s_or_b32 exec_lo, exec_lo, s17
	s_and_saveexec_b32 s17, s3
	s_cbranch_execz .LBB74_176
.LBB74_243:
	v_sub_nc_u32_e32 v74, v15, v5
	v_mov_b32_e32 v75, 0
	v_lshlrev_b64 v[74:75], 2, v[74:75]
	v_add_co_u32 v74, vcc_lo, v72, v74
	v_add_co_ci_u32_e64 v75, null, v73, v75, vcc_lo
	global_store_dword v[74:75], v20, off
	s_or_b32 exec_lo, exec_lo, s17
	s_and_saveexec_b32 s17, s2
	s_cbranch_execz .LBB74_177
.LBB74_244:
	v_sub_nc_u32_e32 v74, v14, v5
	v_mov_b32_e32 v75, 0
	v_lshlrev_b64 v[74:75], 2, v[74:75]
	v_add_co_u32 v74, vcc_lo, v72, v74
	v_add_co_ci_u32_e64 v75, null, v73, v75, vcc_lo
	global_store_dword v[74:75], v17, off
	s_or_b32 exec_lo, exec_lo, s17
	s_and_saveexec_b32 s17, s1
	s_cbranch_execnz .LBB74_178
	s_branch .LBB74_179
.LBB74_245:
	v_sub_nc_u32_e32 v11, v4, v5
	v_lshlrev_b32_e32 v11, 2, v11
	ds_write_b32 v11, v29
	s_or_b32 exec_lo, exec_lo, s17
	s_and_saveexec_b32 s12, s11
	s_cbranch_execz .LBB74_183
.LBB74_246:
	v_sub_nc_u32_e32 v11, v65, v5
	v_lshlrev_b32_e32 v11, 2, v11
	ds_write_b32 v11, v30
	s_or_b32 exec_lo, exec_lo, s12
	s_and_saveexec_b32 s11, s9
	s_cbranch_execz .LBB74_184
.LBB74_247:
	v_sub_nc_u32_e32 v11, v71, v5
	v_lshlrev_b32_e32 v11, 2, v11
	ds_write_b32 v11, v27
	s_or_b32 exec_lo, exec_lo, s11
	s_and_saveexec_b32 s9, s8
	s_cbranch_execz .LBB74_185
.LBB74_248:
	v_sub_nc_u32_e32 v11, v70, v5
	v_lshlrev_b32_e32 v11, 2, v11
	ds_write_b32 v11, v28
	s_or_b32 exec_lo, exec_lo, s9
	s_and_saveexec_b32 s8, s14
	s_cbranch_execz .LBB74_186
.LBB74_249:
	v_sub_nc_u32_e32 v11, v36, v5
	v_lshlrev_b32_e32 v11, 2, v11
	ds_write_b32 v11, v25
	s_or_b32 exec_lo, exec_lo, s8
	s_and_saveexec_b32 s8, s13
	s_cbranch_execz .LBB74_187
.LBB74_250:
	v_sub_nc_u32_e32 v11, v35, v5
	v_lshlrev_b32_e32 v11, 2, v11
	ds_write_b32 v11, v26
	s_or_b32 exec_lo, exec_lo, s8
	s_and_saveexec_b32 s8, s10
	s_cbranch_execz .LBB74_188
.LBB74_251:
	v_sub_nc_u32_e32 v11, v34, v5
	v_lshlrev_b32_e32 v11, 2, v11
	ds_write_b32 v11, v23
	s_or_b32 exec_lo, exec_lo, s8
	s_and_saveexec_b32 s8, s7
	s_cbranch_execz .LBB74_189
.LBB74_252:
	v_sub_nc_u32_e32 v11, v33, v5
	v_lshlrev_b32_e32 v11, 2, v11
	ds_write_b32 v11, v24
	s_or_b32 exec_lo, exec_lo, s8
	s_and_saveexec_b32 s7, s6
	s_cbranch_execz .LBB74_190
.LBB74_253:
	v_sub_nc_u32_e32 v11, v32, v5
	v_lshlrev_b32_e32 v11, 2, v11
	ds_write_b32 v11, v21
	s_or_b32 exec_lo, exec_lo, s7
	s_and_saveexec_b32 s6, s5
	s_cbranch_execz .LBB74_191
.LBB74_254:
	v_sub_nc_u32_e32 v11, v31, v5
	v_lshlrev_b32_e32 v11, 2, v11
	ds_write_b32 v11, v22
	s_or_b32 exec_lo, exec_lo, s6
	s_and_saveexec_b32 s5, s4
	s_cbranch_execz .LBB74_192
.LBB74_255:
	v_sub_nc_u32_e32 v11, v16, v5
	v_lshlrev_b32_e32 v11, 2, v11
	ds_write_b32 v11, v19
	s_or_b32 exec_lo, exec_lo, s5
	s_and_saveexec_b32 s4, s3
	s_cbranch_execz .LBB74_193
.LBB74_256:
	v_sub_nc_u32_e32 v11, v15, v5
	v_lshlrev_b32_e32 v11, 2, v11
	ds_write_b32 v11, v20
	s_or_b32 exec_lo, exec_lo, s4
	s_and_saveexec_b32 s3, s2
	s_cbranch_execz .LBB74_194
.LBB74_257:
	v_sub_nc_u32_e32 v11, v14, v5
	v_lshlrev_b32_e32 v11, 2, v11
	ds_write_b32 v11, v17
	s_or_b32 exec_lo, exec_lo, s3
	s_and_saveexec_b32 s2, s1
	s_cbranch_execnz .LBB74_195
	s_branch .LBB74_196
.LBB74_258:
	v_sub_nc_u32_e32 v18, v4, v2
	v_mov_b32_e32 v19, 0
	v_lshlrev_b64 v[18:19], 2, v[18:19]
	v_add_co_u32 v18, vcc_lo, v12, v18
	v_add_co_ci_u32_e64 v19, null, v17, v19, vcc_lo
	global_store_dword v[18:19], v68, off
	s_or_b32 exec_lo, exec_lo, s17
	s_and_saveexec_b32 s17, s13
	s_cbranch_execz .LBB74_200
.LBB74_259:
	v_sub_nc_u32_e32 v18, v65, v2
	v_mov_b32_e32 v19, 0
	v_lshlrev_b64 v[18:19], 2, v[18:19]
	v_add_co_u32 v18, vcc_lo, v12, v18
	v_add_co_ci_u32_e64 v19, null, v17, v19, vcc_lo
	global_store_dword v[18:19], v66, off
	s_or_b32 exec_lo, exec_lo, s17
	s_and_saveexec_b32 s17, s12
	s_cbranch_execz .LBB74_201
.LBB74_260:
	v_sub_nc_u32_e32 v18, v71, v2
	v_mov_b32_e32 v19, 0
	v_lshlrev_b64 v[18:19], 2, v[18:19]
	v_add_co_u32 v18, vcc_lo, v12, v18
	v_add_co_ci_u32_e64 v19, null, v17, v19, vcc_lo
	global_store_dword v[18:19], v69, off
	s_or_b32 exec_lo, exec_lo, s17
	s_and_saveexec_b32 s17, s11
	s_cbranch_execz .LBB74_202
.LBB74_261:
	v_sub_nc_u32_e32 v18, v70, v2
	v_mov_b32_e32 v19, 0
	v_lshlrev_b64 v[18:19], 2, v[18:19]
	v_add_co_u32 v18, vcc_lo, v12, v18
	v_add_co_ci_u32_e64 v19, null, v17, v19, vcc_lo
	global_store_dword v[18:19], v67, off
	s_or_b32 exec_lo, exec_lo, s17
	s_and_saveexec_b32 s17, s10
	s_cbranch_execz .LBB74_203
.LBB74_262:
	v_sub_nc_u32_e32 v18, v36, v2
	v_mov_b32_e32 v19, 0
	v_lshlrev_b64 v[18:19], 2, v[18:19]
	v_add_co_u32 v18, vcc_lo, v12, v18
	v_add_co_ci_u32_e64 v19, null, v17, v19, vcc_lo
	global_store_dword v[18:19], v55, off
	s_or_b32 exec_lo, exec_lo, s17
	s_and_saveexec_b32 s17, s9
	s_cbranch_execz .LBB74_204
.LBB74_263:
	v_sub_nc_u32_e32 v18, v35, v2
	v_mov_b32_e32 v19, 0
	v_lshlrev_b64 v[18:19], 2, v[18:19]
	v_add_co_u32 v18, vcc_lo, v12, v18
	v_add_co_ci_u32_e64 v19, null, v17, v19, vcc_lo
	global_store_dword v[18:19], v53, off
	s_or_b32 exec_lo, exec_lo, s17
	s_and_saveexec_b32 s17, s8
	s_cbranch_execz .LBB74_205
.LBB74_264:
	v_sub_nc_u32_e32 v18, v34, v2
	v_mov_b32_e32 v19, 0
	v_lshlrev_b64 v[18:19], 2, v[18:19]
	v_add_co_u32 v18, vcc_lo, v12, v18
	v_add_co_ci_u32_e64 v19, null, v17, v19, vcc_lo
	global_store_dword v[18:19], v51, off
	s_or_b32 exec_lo, exec_lo, s17
	s_and_saveexec_b32 s17, s7
	s_cbranch_execz .LBB74_206
.LBB74_265:
	v_sub_nc_u32_e32 v18, v33, v2
	v_mov_b32_e32 v19, 0
	v_lshlrev_b64 v[18:19], 2, v[18:19]
	v_add_co_u32 v18, vcc_lo, v12, v18
	v_add_co_ci_u32_e64 v19, null, v17, v19, vcc_lo
	global_store_dword v[18:19], v49, off
	s_or_b32 exec_lo, exec_lo, s17
	s_and_saveexec_b32 s17, s6
	s_cbranch_execz .LBB74_207
.LBB74_266:
	v_sub_nc_u32_e32 v18, v32, v2
	v_mov_b32_e32 v19, 0
	v_lshlrev_b64 v[18:19], 2, v[18:19]
	v_add_co_u32 v18, vcc_lo, v12, v18
	v_add_co_ci_u32_e64 v19, null, v17, v19, vcc_lo
	global_store_dword v[18:19], v47, off
	s_or_b32 exec_lo, exec_lo, s17
	s_and_saveexec_b32 s17, s5
	s_cbranch_execz .LBB74_208
.LBB74_267:
	v_sub_nc_u32_e32 v18, v31, v2
	v_mov_b32_e32 v19, 0
	v_lshlrev_b64 v[18:19], 2, v[18:19]
	v_add_co_u32 v18, vcc_lo, v12, v18
	v_add_co_ci_u32_e64 v19, null, v17, v19, vcc_lo
	global_store_dword v[18:19], v45, off
	s_or_b32 exec_lo, exec_lo, s17
	s_and_saveexec_b32 s17, s4
	s_cbranch_execz .LBB74_209
.LBB74_268:
	v_sub_nc_u32_e32 v18, v16, v2
	v_mov_b32_e32 v19, 0
	v_lshlrev_b64 v[18:19], 2, v[18:19]
	v_add_co_u32 v18, vcc_lo, v12, v18
	v_add_co_ci_u32_e64 v19, null, v17, v19, vcc_lo
	global_store_dword v[18:19], v41, off
	s_or_b32 exec_lo, exec_lo, s17
	s_and_saveexec_b32 s17, s3
	s_cbranch_execz .LBB74_210
.LBB74_269:
	v_sub_nc_u32_e32 v18, v15, v2
	v_mov_b32_e32 v19, 0
	v_lshlrev_b64 v[18:19], 2, v[18:19]
	v_add_co_u32 v18, vcc_lo, v12, v18
	v_add_co_ci_u32_e64 v19, null, v17, v19, vcc_lo
	global_store_dword v[18:19], v39, off
	s_or_b32 exec_lo, exec_lo, s17
	s_and_saveexec_b32 s17, s2
	s_cbranch_execz .LBB74_211
.LBB74_270:
	v_sub_nc_u32_e32 v18, v14, v2
	v_mov_b32_e32 v19, 0
	v_lshlrev_b64 v[18:19], 2, v[18:19]
	v_add_co_u32 v18, vcc_lo, v12, v18
	v_add_co_ci_u32_e64 v19, null, v17, v19, vcc_lo
	global_store_dword v[18:19], v40, off
	s_or_b32 exec_lo, exec_lo, s17
	s_and_saveexec_b32 s17, s1
	s_cbranch_execnz .LBB74_212
	s_branch .LBB74_213
.LBB74_271:
	v_sub_nc_u32_e32 v3, v4, v2
	v_lshlrev_b32_e32 v3, 2, v3
	ds_write_b32 v3, v68
	s_or_b32 exec_lo, exec_lo, s17
	s_and_saveexec_b32 s14, s13
	s_cbranch_execz .LBB74_217
.LBB74_272:
	v_sub_nc_u32_e32 v3, v65, v2
	v_lshlrev_b32_e32 v3, 2, v3
	ds_write_b32 v3, v66
	s_or_b32 exec_lo, exec_lo, s14
	s_and_saveexec_b32 s13, s12
	s_cbranch_execz .LBB74_218
.LBB74_273:
	v_sub_nc_u32_e32 v3, v71, v2
	v_lshlrev_b32_e32 v3, 2, v3
	ds_write_b32 v3, v69
	s_or_b32 exec_lo, exec_lo, s13
	s_and_saveexec_b32 s12, s11
	s_cbranch_execz .LBB74_219
.LBB74_274:
	v_sub_nc_u32_e32 v3, v70, v2
	v_lshlrev_b32_e32 v3, 2, v3
	ds_write_b32 v3, v67
	s_or_b32 exec_lo, exec_lo, s12
	s_and_saveexec_b32 s11, s10
	s_cbranch_execz .LBB74_220
.LBB74_275:
	v_sub_nc_u32_e32 v3, v36, v2
	v_lshlrev_b32_e32 v3, 2, v3
	ds_write_b32 v3, v55
	s_or_b32 exec_lo, exec_lo, s11
	s_and_saveexec_b32 s10, s9
	s_cbranch_execz .LBB74_221
.LBB74_276:
	v_sub_nc_u32_e32 v3, v35, v2
	v_lshlrev_b32_e32 v3, 2, v3
	ds_write_b32 v3, v53
	s_or_b32 exec_lo, exec_lo, s10
	s_and_saveexec_b32 s9, s8
	s_cbranch_execz .LBB74_222
.LBB74_277:
	v_sub_nc_u32_e32 v3, v34, v2
	v_lshlrev_b32_e32 v3, 2, v3
	ds_write_b32 v3, v51
	s_or_b32 exec_lo, exec_lo, s9
	s_and_saveexec_b32 s8, s7
	s_cbranch_execz .LBB74_223
.LBB74_278:
	v_sub_nc_u32_e32 v3, v33, v2
	v_lshlrev_b32_e32 v3, 2, v3
	ds_write_b32 v3, v49
	s_or_b32 exec_lo, exec_lo, s8
	s_and_saveexec_b32 s7, s6
	s_cbranch_execz .LBB74_224
.LBB74_279:
	v_sub_nc_u32_e32 v3, v32, v2
	v_lshlrev_b32_e32 v3, 2, v3
	ds_write_b32 v3, v47
	s_or_b32 exec_lo, exec_lo, s7
	s_and_saveexec_b32 s6, s5
	s_cbranch_execz .LBB74_225
.LBB74_280:
	v_sub_nc_u32_e32 v3, v31, v2
	v_lshlrev_b32_e32 v3, 2, v3
	ds_write_b32 v3, v45
	s_or_b32 exec_lo, exec_lo, s6
	s_and_saveexec_b32 s5, s4
	s_cbranch_execz .LBB74_226
.LBB74_281:
	v_sub_nc_u32_e32 v3, v16, v2
	v_lshlrev_b32_e32 v3, 2, v3
	ds_write_b32 v3, v41
	s_or_b32 exec_lo, exec_lo, s5
	s_and_saveexec_b32 s4, s3
	s_cbranch_execz .LBB74_227
.LBB74_282:
	v_sub_nc_u32_e32 v3, v15, v2
	v_lshlrev_b32_e32 v3, 2, v3
	ds_write_b32 v3, v39
	s_or_b32 exec_lo, exec_lo, s4
	s_and_saveexec_b32 s3, s2
	s_cbranch_execz .LBB74_228
.LBB74_283:
	v_sub_nc_u32_e32 v3, v14, v2
	v_lshlrev_b32_e32 v3, 2, v3
	ds_write_b32 v3, v40
	s_or_b32 exec_lo, exec_lo, s3
	s_and_saveexec_b32 s2, s1
	s_cbranch_execnz .LBB74_229
	s_branch .LBB74_230
	.section	.rodata,"a",@progbits
	.p2align	6, 0x0
	.amdhsa_kernel _ZN7rocprim17ROCPRIM_400000_NS6detail17trampoline_kernelINS0_14default_configENS1_29reduce_by_key_config_selectorIifN6thrust23THRUST_200600_302600_NS4plusIfEEEEZZNS1_33reduce_by_key_impl_wrapped_configILNS1_25lookback_scan_determinismE0ES3_S9_NS6_6detail15normal_iteratorINS6_10device_ptrIiEEEENSD_INSE_IfEEEESG_SI_PmS8_NS6_8equal_toIiEEEE10hipError_tPvRmT2_T3_mT4_T5_T6_T7_T8_P12ihipStream_tbENKUlT_T0_E_clISt17integral_constantIbLb0EES13_EEDaSY_SZ_EUlSY_E_NS1_11comp_targetILNS1_3genE8ELNS1_11target_archE1030ELNS1_3gpuE2ELNS1_3repE0EEENS1_30default_config_static_selectorELNS0_4arch9wavefront6targetE0EEEvT1_
		.amdhsa_group_segment_fixed_size 15360
		.amdhsa_private_segment_fixed_size 0
		.amdhsa_kernarg_size 120
		.amdhsa_user_sgpr_count 6
		.amdhsa_user_sgpr_private_segment_buffer 1
		.amdhsa_user_sgpr_dispatch_ptr 0
		.amdhsa_user_sgpr_queue_ptr 0
		.amdhsa_user_sgpr_kernarg_segment_ptr 1
		.amdhsa_user_sgpr_dispatch_id 0
		.amdhsa_user_sgpr_flat_scratch_init 0
		.amdhsa_user_sgpr_private_segment_size 0
		.amdhsa_wavefront_size32 1
		.amdhsa_uses_dynamic_stack 0
		.amdhsa_system_sgpr_private_segment_wavefront_offset 0
		.amdhsa_system_sgpr_workgroup_id_x 1
		.amdhsa_system_sgpr_workgroup_id_y 0
		.amdhsa_system_sgpr_workgroup_id_z 0
		.amdhsa_system_sgpr_workgroup_info 0
		.amdhsa_system_vgpr_workitem_id 0
		.amdhsa_next_free_vgpr 86
		.amdhsa_next_free_sgpr 44
		.amdhsa_reserve_vcc 1
		.amdhsa_reserve_flat_scratch 1
		.amdhsa_float_round_mode_32 0
		.amdhsa_float_round_mode_16_64 0
		.amdhsa_float_denorm_mode_32 3
		.amdhsa_float_denorm_mode_16_64 3
		.amdhsa_dx10_clamp 1
		.amdhsa_ieee_mode 1
		.amdhsa_fp16_overflow 0
		.amdhsa_workgroup_processor_mode 1
		.amdhsa_memory_ordered 1
		.amdhsa_forward_progress 1
		.amdhsa_shared_vgpr_count 0
		.amdhsa_exception_fp_ieee_invalid_op 0
		.amdhsa_exception_fp_denorm_src 0
		.amdhsa_exception_fp_ieee_div_zero 0
		.amdhsa_exception_fp_ieee_overflow 0
		.amdhsa_exception_fp_ieee_underflow 0
		.amdhsa_exception_fp_ieee_inexact 0
		.amdhsa_exception_int_div_zero 0
	.end_amdhsa_kernel
	.section	.text._ZN7rocprim17ROCPRIM_400000_NS6detail17trampoline_kernelINS0_14default_configENS1_29reduce_by_key_config_selectorIifN6thrust23THRUST_200600_302600_NS4plusIfEEEEZZNS1_33reduce_by_key_impl_wrapped_configILNS1_25lookback_scan_determinismE0ES3_S9_NS6_6detail15normal_iteratorINS6_10device_ptrIiEEEENSD_INSE_IfEEEESG_SI_PmS8_NS6_8equal_toIiEEEE10hipError_tPvRmT2_T3_mT4_T5_T6_T7_T8_P12ihipStream_tbENKUlT_T0_E_clISt17integral_constantIbLb0EES13_EEDaSY_SZ_EUlSY_E_NS1_11comp_targetILNS1_3genE8ELNS1_11target_archE1030ELNS1_3gpuE2ELNS1_3repE0EEENS1_30default_config_static_selectorELNS0_4arch9wavefront6targetE0EEEvT1_,"axG",@progbits,_ZN7rocprim17ROCPRIM_400000_NS6detail17trampoline_kernelINS0_14default_configENS1_29reduce_by_key_config_selectorIifN6thrust23THRUST_200600_302600_NS4plusIfEEEEZZNS1_33reduce_by_key_impl_wrapped_configILNS1_25lookback_scan_determinismE0ES3_S9_NS6_6detail15normal_iteratorINS6_10device_ptrIiEEEENSD_INSE_IfEEEESG_SI_PmS8_NS6_8equal_toIiEEEE10hipError_tPvRmT2_T3_mT4_T5_T6_T7_T8_P12ihipStream_tbENKUlT_T0_E_clISt17integral_constantIbLb0EES13_EEDaSY_SZ_EUlSY_E_NS1_11comp_targetILNS1_3genE8ELNS1_11target_archE1030ELNS1_3gpuE2ELNS1_3repE0EEENS1_30default_config_static_selectorELNS0_4arch9wavefront6targetE0EEEvT1_,comdat
.Lfunc_end74:
	.size	_ZN7rocprim17ROCPRIM_400000_NS6detail17trampoline_kernelINS0_14default_configENS1_29reduce_by_key_config_selectorIifN6thrust23THRUST_200600_302600_NS4plusIfEEEEZZNS1_33reduce_by_key_impl_wrapped_configILNS1_25lookback_scan_determinismE0ES3_S9_NS6_6detail15normal_iteratorINS6_10device_ptrIiEEEENSD_INSE_IfEEEESG_SI_PmS8_NS6_8equal_toIiEEEE10hipError_tPvRmT2_T3_mT4_T5_T6_T7_T8_P12ihipStream_tbENKUlT_T0_E_clISt17integral_constantIbLb0EES13_EEDaSY_SZ_EUlSY_E_NS1_11comp_targetILNS1_3genE8ELNS1_11target_archE1030ELNS1_3gpuE2ELNS1_3repE0EEENS1_30default_config_static_selectorELNS0_4arch9wavefront6targetE0EEEvT1_, .Lfunc_end74-_ZN7rocprim17ROCPRIM_400000_NS6detail17trampoline_kernelINS0_14default_configENS1_29reduce_by_key_config_selectorIifN6thrust23THRUST_200600_302600_NS4plusIfEEEEZZNS1_33reduce_by_key_impl_wrapped_configILNS1_25lookback_scan_determinismE0ES3_S9_NS6_6detail15normal_iteratorINS6_10device_ptrIiEEEENSD_INSE_IfEEEESG_SI_PmS8_NS6_8equal_toIiEEEE10hipError_tPvRmT2_T3_mT4_T5_T6_T7_T8_P12ihipStream_tbENKUlT_T0_E_clISt17integral_constantIbLb0EES13_EEDaSY_SZ_EUlSY_E_NS1_11comp_targetILNS1_3genE8ELNS1_11target_archE1030ELNS1_3gpuE2ELNS1_3repE0EEENS1_30default_config_static_selectorELNS0_4arch9wavefront6targetE0EEEvT1_
                                        ; -- End function
	.set _ZN7rocprim17ROCPRIM_400000_NS6detail17trampoline_kernelINS0_14default_configENS1_29reduce_by_key_config_selectorIifN6thrust23THRUST_200600_302600_NS4plusIfEEEEZZNS1_33reduce_by_key_impl_wrapped_configILNS1_25lookback_scan_determinismE0ES3_S9_NS6_6detail15normal_iteratorINS6_10device_ptrIiEEEENSD_INSE_IfEEEESG_SI_PmS8_NS6_8equal_toIiEEEE10hipError_tPvRmT2_T3_mT4_T5_T6_T7_T8_P12ihipStream_tbENKUlT_T0_E_clISt17integral_constantIbLb0EES13_EEDaSY_SZ_EUlSY_E_NS1_11comp_targetILNS1_3genE8ELNS1_11target_archE1030ELNS1_3gpuE2ELNS1_3repE0EEENS1_30default_config_static_selectorELNS0_4arch9wavefront6targetE0EEEvT1_.num_vgpr, 86
	.set _ZN7rocprim17ROCPRIM_400000_NS6detail17trampoline_kernelINS0_14default_configENS1_29reduce_by_key_config_selectorIifN6thrust23THRUST_200600_302600_NS4plusIfEEEEZZNS1_33reduce_by_key_impl_wrapped_configILNS1_25lookback_scan_determinismE0ES3_S9_NS6_6detail15normal_iteratorINS6_10device_ptrIiEEEENSD_INSE_IfEEEESG_SI_PmS8_NS6_8equal_toIiEEEE10hipError_tPvRmT2_T3_mT4_T5_T6_T7_T8_P12ihipStream_tbENKUlT_T0_E_clISt17integral_constantIbLb0EES13_EEDaSY_SZ_EUlSY_E_NS1_11comp_targetILNS1_3genE8ELNS1_11target_archE1030ELNS1_3gpuE2ELNS1_3repE0EEENS1_30default_config_static_selectorELNS0_4arch9wavefront6targetE0EEEvT1_.num_agpr, 0
	.set _ZN7rocprim17ROCPRIM_400000_NS6detail17trampoline_kernelINS0_14default_configENS1_29reduce_by_key_config_selectorIifN6thrust23THRUST_200600_302600_NS4plusIfEEEEZZNS1_33reduce_by_key_impl_wrapped_configILNS1_25lookback_scan_determinismE0ES3_S9_NS6_6detail15normal_iteratorINS6_10device_ptrIiEEEENSD_INSE_IfEEEESG_SI_PmS8_NS6_8equal_toIiEEEE10hipError_tPvRmT2_T3_mT4_T5_T6_T7_T8_P12ihipStream_tbENKUlT_T0_E_clISt17integral_constantIbLb0EES13_EEDaSY_SZ_EUlSY_E_NS1_11comp_targetILNS1_3genE8ELNS1_11target_archE1030ELNS1_3gpuE2ELNS1_3repE0EEENS1_30default_config_static_selectorELNS0_4arch9wavefront6targetE0EEEvT1_.numbered_sgpr, 44
	.set _ZN7rocprim17ROCPRIM_400000_NS6detail17trampoline_kernelINS0_14default_configENS1_29reduce_by_key_config_selectorIifN6thrust23THRUST_200600_302600_NS4plusIfEEEEZZNS1_33reduce_by_key_impl_wrapped_configILNS1_25lookback_scan_determinismE0ES3_S9_NS6_6detail15normal_iteratorINS6_10device_ptrIiEEEENSD_INSE_IfEEEESG_SI_PmS8_NS6_8equal_toIiEEEE10hipError_tPvRmT2_T3_mT4_T5_T6_T7_T8_P12ihipStream_tbENKUlT_T0_E_clISt17integral_constantIbLb0EES13_EEDaSY_SZ_EUlSY_E_NS1_11comp_targetILNS1_3genE8ELNS1_11target_archE1030ELNS1_3gpuE2ELNS1_3repE0EEENS1_30default_config_static_selectorELNS0_4arch9wavefront6targetE0EEEvT1_.num_named_barrier, 0
	.set _ZN7rocprim17ROCPRIM_400000_NS6detail17trampoline_kernelINS0_14default_configENS1_29reduce_by_key_config_selectorIifN6thrust23THRUST_200600_302600_NS4plusIfEEEEZZNS1_33reduce_by_key_impl_wrapped_configILNS1_25lookback_scan_determinismE0ES3_S9_NS6_6detail15normal_iteratorINS6_10device_ptrIiEEEENSD_INSE_IfEEEESG_SI_PmS8_NS6_8equal_toIiEEEE10hipError_tPvRmT2_T3_mT4_T5_T6_T7_T8_P12ihipStream_tbENKUlT_T0_E_clISt17integral_constantIbLb0EES13_EEDaSY_SZ_EUlSY_E_NS1_11comp_targetILNS1_3genE8ELNS1_11target_archE1030ELNS1_3gpuE2ELNS1_3repE0EEENS1_30default_config_static_selectorELNS0_4arch9wavefront6targetE0EEEvT1_.private_seg_size, 0
	.set _ZN7rocprim17ROCPRIM_400000_NS6detail17trampoline_kernelINS0_14default_configENS1_29reduce_by_key_config_selectorIifN6thrust23THRUST_200600_302600_NS4plusIfEEEEZZNS1_33reduce_by_key_impl_wrapped_configILNS1_25lookback_scan_determinismE0ES3_S9_NS6_6detail15normal_iteratorINS6_10device_ptrIiEEEENSD_INSE_IfEEEESG_SI_PmS8_NS6_8equal_toIiEEEE10hipError_tPvRmT2_T3_mT4_T5_T6_T7_T8_P12ihipStream_tbENKUlT_T0_E_clISt17integral_constantIbLb0EES13_EEDaSY_SZ_EUlSY_E_NS1_11comp_targetILNS1_3genE8ELNS1_11target_archE1030ELNS1_3gpuE2ELNS1_3repE0EEENS1_30default_config_static_selectorELNS0_4arch9wavefront6targetE0EEEvT1_.uses_vcc, 1
	.set _ZN7rocprim17ROCPRIM_400000_NS6detail17trampoline_kernelINS0_14default_configENS1_29reduce_by_key_config_selectorIifN6thrust23THRUST_200600_302600_NS4plusIfEEEEZZNS1_33reduce_by_key_impl_wrapped_configILNS1_25lookback_scan_determinismE0ES3_S9_NS6_6detail15normal_iteratorINS6_10device_ptrIiEEEENSD_INSE_IfEEEESG_SI_PmS8_NS6_8equal_toIiEEEE10hipError_tPvRmT2_T3_mT4_T5_T6_T7_T8_P12ihipStream_tbENKUlT_T0_E_clISt17integral_constantIbLb0EES13_EEDaSY_SZ_EUlSY_E_NS1_11comp_targetILNS1_3genE8ELNS1_11target_archE1030ELNS1_3gpuE2ELNS1_3repE0EEENS1_30default_config_static_selectorELNS0_4arch9wavefront6targetE0EEEvT1_.uses_flat_scratch, 1
	.set _ZN7rocprim17ROCPRIM_400000_NS6detail17trampoline_kernelINS0_14default_configENS1_29reduce_by_key_config_selectorIifN6thrust23THRUST_200600_302600_NS4plusIfEEEEZZNS1_33reduce_by_key_impl_wrapped_configILNS1_25lookback_scan_determinismE0ES3_S9_NS6_6detail15normal_iteratorINS6_10device_ptrIiEEEENSD_INSE_IfEEEESG_SI_PmS8_NS6_8equal_toIiEEEE10hipError_tPvRmT2_T3_mT4_T5_T6_T7_T8_P12ihipStream_tbENKUlT_T0_E_clISt17integral_constantIbLb0EES13_EEDaSY_SZ_EUlSY_E_NS1_11comp_targetILNS1_3genE8ELNS1_11target_archE1030ELNS1_3gpuE2ELNS1_3repE0EEENS1_30default_config_static_selectorELNS0_4arch9wavefront6targetE0EEEvT1_.has_dyn_sized_stack, 0
	.set _ZN7rocprim17ROCPRIM_400000_NS6detail17trampoline_kernelINS0_14default_configENS1_29reduce_by_key_config_selectorIifN6thrust23THRUST_200600_302600_NS4plusIfEEEEZZNS1_33reduce_by_key_impl_wrapped_configILNS1_25lookback_scan_determinismE0ES3_S9_NS6_6detail15normal_iteratorINS6_10device_ptrIiEEEENSD_INSE_IfEEEESG_SI_PmS8_NS6_8equal_toIiEEEE10hipError_tPvRmT2_T3_mT4_T5_T6_T7_T8_P12ihipStream_tbENKUlT_T0_E_clISt17integral_constantIbLb0EES13_EEDaSY_SZ_EUlSY_E_NS1_11comp_targetILNS1_3genE8ELNS1_11target_archE1030ELNS1_3gpuE2ELNS1_3repE0EEENS1_30default_config_static_selectorELNS0_4arch9wavefront6targetE0EEEvT1_.has_recursion, 0
	.set _ZN7rocprim17ROCPRIM_400000_NS6detail17trampoline_kernelINS0_14default_configENS1_29reduce_by_key_config_selectorIifN6thrust23THRUST_200600_302600_NS4plusIfEEEEZZNS1_33reduce_by_key_impl_wrapped_configILNS1_25lookback_scan_determinismE0ES3_S9_NS6_6detail15normal_iteratorINS6_10device_ptrIiEEEENSD_INSE_IfEEEESG_SI_PmS8_NS6_8equal_toIiEEEE10hipError_tPvRmT2_T3_mT4_T5_T6_T7_T8_P12ihipStream_tbENKUlT_T0_E_clISt17integral_constantIbLb0EES13_EEDaSY_SZ_EUlSY_E_NS1_11comp_targetILNS1_3genE8ELNS1_11target_archE1030ELNS1_3gpuE2ELNS1_3repE0EEENS1_30default_config_static_selectorELNS0_4arch9wavefront6targetE0EEEvT1_.has_indirect_call, 0
	.section	.AMDGPU.csdata,"",@progbits
; Kernel info:
; codeLenInByte = 16108
; TotalNumSgprs: 46
; NumVgprs: 86
; ScratchSize: 0
; MemoryBound: 0
; FloatMode: 240
; IeeeMode: 1
; LDSByteSize: 15360 bytes/workgroup (compile time only)
; SGPRBlocks: 0
; VGPRBlocks: 10
; NumSGPRsForWavesPerEU: 46
; NumVGPRsForWavesPerEU: 86
; Occupancy: 10
; WaveLimiterHint : 1
; COMPUTE_PGM_RSRC2:SCRATCH_EN: 0
; COMPUTE_PGM_RSRC2:USER_SGPR: 6
; COMPUTE_PGM_RSRC2:TRAP_HANDLER: 0
; COMPUTE_PGM_RSRC2:TGID_X_EN: 1
; COMPUTE_PGM_RSRC2:TGID_Y_EN: 0
; COMPUTE_PGM_RSRC2:TGID_Z_EN: 0
; COMPUTE_PGM_RSRC2:TIDIG_COMP_CNT: 0
	.section	.text._ZN7rocprim17ROCPRIM_400000_NS6detail25reduce_by_key_init_kernelINS1_19lookback_scan_stateINS0_5tupleIJjfEEELb1ELb1EEEfNS1_16block_id_wrapperIjLb1EEEEEvT_jbjPmPT0_T1_,"axG",@progbits,_ZN7rocprim17ROCPRIM_400000_NS6detail25reduce_by_key_init_kernelINS1_19lookback_scan_stateINS0_5tupleIJjfEEELb1ELb1EEEfNS1_16block_id_wrapperIjLb1EEEEEvT_jbjPmPT0_T1_,comdat
	.protected	_ZN7rocprim17ROCPRIM_400000_NS6detail25reduce_by_key_init_kernelINS1_19lookback_scan_stateINS0_5tupleIJjfEEELb1ELb1EEEfNS1_16block_id_wrapperIjLb1EEEEEvT_jbjPmPT0_T1_ ; -- Begin function _ZN7rocprim17ROCPRIM_400000_NS6detail25reduce_by_key_init_kernelINS1_19lookback_scan_stateINS0_5tupleIJjfEEELb1ELb1EEEfNS1_16block_id_wrapperIjLb1EEEEEvT_jbjPmPT0_T1_
	.globl	_ZN7rocprim17ROCPRIM_400000_NS6detail25reduce_by_key_init_kernelINS1_19lookback_scan_stateINS0_5tupleIJjfEEELb1ELb1EEEfNS1_16block_id_wrapperIjLb1EEEEEvT_jbjPmPT0_T1_
	.p2align	8
	.type	_ZN7rocprim17ROCPRIM_400000_NS6detail25reduce_by_key_init_kernelINS1_19lookback_scan_stateINS0_5tupleIJjfEEELb1ELb1EEEfNS1_16block_id_wrapperIjLb1EEEEEvT_jbjPmPT0_T1_,@function
_ZN7rocprim17ROCPRIM_400000_NS6detail25reduce_by_key_init_kernelINS1_19lookback_scan_stateINS0_5tupleIJjfEEELb1ELb1EEEfNS1_16block_id_wrapperIjLb1EEEEEvT_jbjPmPT0_T1_: ; @_ZN7rocprim17ROCPRIM_400000_NS6detail25reduce_by_key_init_kernelINS1_19lookback_scan_stateINS0_5tupleIJjfEEELb1ELb1EEEfNS1_16block_id_wrapperIjLb1EEEEEvT_jbjPmPT0_T1_
; %bb.0:
	s_clause 0x3
	s_load_dword s0, s[4:5], 0x3c
	s_load_dwordx8 s[8:15], s[4:5], 0x8
	s_load_dwordx2 s[16:17], s[4:5], 0x28
	s_load_dwordx2 s[2:3], s[4:5], 0x0
	s_mov_b32 s1, -1
	s_waitcnt lgkmcnt(0)
	s_and_b32 s0, s0, 0xffff
	v_mad_u64_u32 v[0:1], null, s6, s0, v[0:1]
	s_and_b32 s0, s9, 1
	s_cmp_eq_u32 s0, 0
	s_cbranch_scc0 .LBB75_10
; %bb.1:
	s_cmp_lt_u32 s10, s8
	s_mov_b32 s6, exec_lo
	s_cselect_b32 s0, s10, 0
	v_cmpx_eq_u32_e64 s0, v0
	s_cbranch_execz .LBB75_9
; %bb.2:
	s_add_i32 s0, s10, 32
	s_mov_b32 s1, 0
	v_mov_b32_e32 v5, 0
	s_lshl_b64 s[4:5], s[0:1], 4
	s_mov_b32 s0, exec_lo
	s_add_u32 s4, s2, s4
	s_addc_u32 s5, s3, s5
	v_mov_b32_e32 v1, s4
	v_mov_b32_e32 v2, s5
	;;#ASMSTART
	global_load_dwordx4 v[1:4], v[1:2] off glc dlc	
s_waitcnt vmcnt(0)
	;;#ASMEND
	v_lshrrev_b64 v[10:11], 8, v[1:2]
	v_lshrrev_b64 v[8:9], 16, v[1:2]
	;; [unrolled: 1-line block ×3, first 2 shown]
	v_and_b32_e32 v4, 0xff, v3
	v_cmpx_eq_u64_e32 0, v[4:5]
	s_cbranch_execz .LBB75_8
; %bb.3:
	v_mov_b32_e32 v7, s5
	v_mov_b32_e32 v6, s4
	s_mov_b32 s4, 1
	.p2align	6
.LBB75_4:                               ; =>This Loop Header: Depth=1
                                        ;     Child Loop BB75_5 Depth 2
	s_mov_b32 s5, s4
.LBB75_5:                               ;   Parent Loop BB75_4 Depth=1
                                        ; =>  This Inner Loop Header: Depth=2
	s_add_i32 s5, s5, -1
	s_sleep 1
	s_cmp_eq_u32 s5, 0
	s_cbranch_scc0 .LBB75_5
; %bb.6:                                ;   in Loop: Header=BB75_4 Depth=1
	;;#ASMSTART
	global_load_dwordx4 v[1:4], v[6:7] off glc dlc	
s_waitcnt vmcnt(0)
	;;#ASMEND
	v_and_b32_e32 v4, 0xff, v3
	s_cmp_lt_u32 s4, 32
	s_cselect_b32 s5, -1, 0
	s_cmp_lg_u32 s5, 0
	v_cmp_ne_u64_e32 vcc_lo, 0, v[4:5]
	s_addc_u32 s4, s4, 0
	s_or_b32 s1, vcc_lo, s1
	s_andn2_b32 exec_lo, exec_lo, s1
	s_cbranch_execnz .LBB75_4
; %bb.7:
	s_or_b32 exec_lo, exec_lo, s1
	v_lshrrev_b64 v[6:7], 24, v[1:2]
	v_lshrrev_b64 v[8:9], 16, v[1:2]
	;; [unrolled: 1-line block ×3, first 2 shown]
.LBB75_8:
	s_or_b32 exec_lo, exec_lo, s0
	v_mov_b32_e32 v5, 0
	v_lshlrev_b32_e32 v7, 8, v10
	v_lshlrev_b32_e32 v8, 16, v8
	;; [unrolled: 1-line block ×3, first 2 shown]
	global_load_dwordx2 v[3:4], v5, s[12:13]
	v_perm_b32 v1, v7, v1, 0xc0c0500
	v_and_or_b32 v1, 0xff0000, v8, v1
	s_waitcnt vmcnt(0)
	v_add_co_u32 v1, vcc_lo, v1, v3
	v_add_co_ci_u32_e64 v4, null, 0, v4, vcc_lo
	v_add_co_u32 v3, vcc_lo, v1, v6
	v_add_co_ci_u32_e64 v4, null, 0, v4, vcc_lo
	global_store_dwordx2 v5, v[3:4], s[12:13]
	global_store_dword v5, v2, s[14:15]
.LBB75_9:
	s_or_b32 exec_lo, exec_lo, s6
	s_mov_b32 s1, 0
.LBB75_10:
	v_cmp_eq_u32_e64 s0, 0, v0
	s_andn2_b32 vcc_lo, exec_lo, s1
	s_cbranch_vccnz .LBB75_14
; %bb.11:
	s_cmp_lg_u64 s[12:13], 0
	s_cselect_b32 s1, -1, 0
	s_and_b32 s1, s1, s0
	s_and_saveexec_b32 s0, s1
	s_cbranch_execz .LBB75_13
; %bb.12:
	v_mov_b32_e32 v1, 0
	v_mov_b32_e32 v2, v1
	global_store_dwordx2 v1, v[1:2], s[12:13]
.LBB75_13:
	s_or_b32 exec_lo, exec_lo, s0
.LBB75_14:
	s_mov_b32 s0, exec_lo
	v_cmpx_eq_u32_e32 0, v0
	s_cbranch_execz .LBB75_16
; %bb.15:
	v_mov_b32_e32 v1, 0
	global_store_dword v1, v1, s[16:17]
.LBB75_16:
	s_or_b32 exec_lo, exec_lo, s0
	s_mov_b32 s0, exec_lo
	v_cmpx_gt_u32_e64 s8, v0
	s_cbranch_execz .LBB75_18
; %bb.17:
	v_add_nc_u32_e32 v1, 32, v0
	v_mov_b32_e32 v2, 0
	v_lshlrev_b64 v[4:5], 4, v[1:2]
	v_mov_b32_e32 v1, v2
	v_mov_b32_e32 v3, v2
	v_add_co_u32 v6, vcc_lo, s2, v4
	v_add_co_ci_u32_e64 v7, null, s3, v5, vcc_lo
	v_mov_b32_e32 v4, v2
	global_store_dwordx4 v[6:7], v[1:4], off
.LBB75_18:
	s_or_b32 exec_lo, exec_lo, s0
	s_mov_b32 s0, exec_lo
	v_cmpx_gt_u32_e32 32, v0
	s_cbranch_execz .LBB75_20
; %bb.19:
	v_mov_b32_e32 v1, 0
	v_mov_b32_e32 v2, 0xff
	v_lshlrev_b64 v[3:4], 4, v[0:1]
	v_mov_b32_e32 v0, v1
	v_add_co_u32 v5, vcc_lo, s2, v3
	v_add_co_ci_u32_e64 v6, null, s3, v4, vcc_lo
	v_mov_b32_e32 v3, v1
	global_store_dwordx4 v[5:6], v[0:3], off
.LBB75_20:
	s_endpgm
	.section	.rodata,"a",@progbits
	.p2align	6, 0x0
	.amdhsa_kernel _ZN7rocprim17ROCPRIM_400000_NS6detail25reduce_by_key_init_kernelINS1_19lookback_scan_stateINS0_5tupleIJjfEEELb1ELb1EEEfNS1_16block_id_wrapperIjLb1EEEEEvT_jbjPmPT0_T1_
		.amdhsa_group_segment_fixed_size 0
		.amdhsa_private_segment_fixed_size 0
		.amdhsa_kernarg_size 304
		.amdhsa_user_sgpr_count 6
		.amdhsa_user_sgpr_private_segment_buffer 1
		.amdhsa_user_sgpr_dispatch_ptr 0
		.amdhsa_user_sgpr_queue_ptr 0
		.amdhsa_user_sgpr_kernarg_segment_ptr 1
		.amdhsa_user_sgpr_dispatch_id 0
		.amdhsa_user_sgpr_flat_scratch_init 0
		.amdhsa_user_sgpr_private_segment_size 0
		.amdhsa_wavefront_size32 1
		.amdhsa_uses_dynamic_stack 0
		.amdhsa_system_sgpr_private_segment_wavefront_offset 0
		.amdhsa_system_sgpr_workgroup_id_x 1
		.amdhsa_system_sgpr_workgroup_id_y 0
		.amdhsa_system_sgpr_workgroup_id_z 0
		.amdhsa_system_sgpr_workgroup_info 0
		.amdhsa_system_vgpr_workitem_id 0
		.amdhsa_next_free_vgpr 12
		.amdhsa_next_free_sgpr 18
		.amdhsa_reserve_vcc 1
		.amdhsa_reserve_flat_scratch 0
		.amdhsa_float_round_mode_32 0
		.amdhsa_float_round_mode_16_64 0
		.amdhsa_float_denorm_mode_32 3
		.amdhsa_float_denorm_mode_16_64 3
		.amdhsa_dx10_clamp 1
		.amdhsa_ieee_mode 1
		.amdhsa_fp16_overflow 0
		.amdhsa_workgroup_processor_mode 1
		.amdhsa_memory_ordered 1
		.amdhsa_forward_progress 1
		.amdhsa_shared_vgpr_count 0
		.amdhsa_exception_fp_ieee_invalid_op 0
		.amdhsa_exception_fp_denorm_src 0
		.amdhsa_exception_fp_ieee_div_zero 0
		.amdhsa_exception_fp_ieee_overflow 0
		.amdhsa_exception_fp_ieee_underflow 0
		.amdhsa_exception_fp_ieee_inexact 0
		.amdhsa_exception_int_div_zero 0
	.end_amdhsa_kernel
	.section	.text._ZN7rocprim17ROCPRIM_400000_NS6detail25reduce_by_key_init_kernelINS1_19lookback_scan_stateINS0_5tupleIJjfEEELb1ELb1EEEfNS1_16block_id_wrapperIjLb1EEEEEvT_jbjPmPT0_T1_,"axG",@progbits,_ZN7rocprim17ROCPRIM_400000_NS6detail25reduce_by_key_init_kernelINS1_19lookback_scan_stateINS0_5tupleIJjfEEELb1ELb1EEEfNS1_16block_id_wrapperIjLb1EEEEEvT_jbjPmPT0_T1_,comdat
.Lfunc_end75:
	.size	_ZN7rocprim17ROCPRIM_400000_NS6detail25reduce_by_key_init_kernelINS1_19lookback_scan_stateINS0_5tupleIJjfEEELb1ELb1EEEfNS1_16block_id_wrapperIjLb1EEEEEvT_jbjPmPT0_T1_, .Lfunc_end75-_ZN7rocprim17ROCPRIM_400000_NS6detail25reduce_by_key_init_kernelINS1_19lookback_scan_stateINS0_5tupleIJjfEEELb1ELb1EEEfNS1_16block_id_wrapperIjLb1EEEEEvT_jbjPmPT0_T1_
                                        ; -- End function
	.set _ZN7rocprim17ROCPRIM_400000_NS6detail25reduce_by_key_init_kernelINS1_19lookback_scan_stateINS0_5tupleIJjfEEELb1ELb1EEEfNS1_16block_id_wrapperIjLb1EEEEEvT_jbjPmPT0_T1_.num_vgpr, 12
	.set _ZN7rocprim17ROCPRIM_400000_NS6detail25reduce_by_key_init_kernelINS1_19lookback_scan_stateINS0_5tupleIJjfEEELb1ELb1EEEfNS1_16block_id_wrapperIjLb1EEEEEvT_jbjPmPT0_T1_.num_agpr, 0
	.set _ZN7rocprim17ROCPRIM_400000_NS6detail25reduce_by_key_init_kernelINS1_19lookback_scan_stateINS0_5tupleIJjfEEELb1ELb1EEEfNS1_16block_id_wrapperIjLb1EEEEEvT_jbjPmPT0_T1_.numbered_sgpr, 18
	.set _ZN7rocprim17ROCPRIM_400000_NS6detail25reduce_by_key_init_kernelINS1_19lookback_scan_stateINS0_5tupleIJjfEEELb1ELb1EEEfNS1_16block_id_wrapperIjLb1EEEEEvT_jbjPmPT0_T1_.num_named_barrier, 0
	.set _ZN7rocprim17ROCPRIM_400000_NS6detail25reduce_by_key_init_kernelINS1_19lookback_scan_stateINS0_5tupleIJjfEEELb1ELb1EEEfNS1_16block_id_wrapperIjLb1EEEEEvT_jbjPmPT0_T1_.private_seg_size, 0
	.set _ZN7rocprim17ROCPRIM_400000_NS6detail25reduce_by_key_init_kernelINS1_19lookback_scan_stateINS0_5tupleIJjfEEELb1ELb1EEEfNS1_16block_id_wrapperIjLb1EEEEEvT_jbjPmPT0_T1_.uses_vcc, 1
	.set _ZN7rocprim17ROCPRIM_400000_NS6detail25reduce_by_key_init_kernelINS1_19lookback_scan_stateINS0_5tupleIJjfEEELb1ELb1EEEfNS1_16block_id_wrapperIjLb1EEEEEvT_jbjPmPT0_T1_.uses_flat_scratch, 0
	.set _ZN7rocprim17ROCPRIM_400000_NS6detail25reduce_by_key_init_kernelINS1_19lookback_scan_stateINS0_5tupleIJjfEEELb1ELb1EEEfNS1_16block_id_wrapperIjLb1EEEEEvT_jbjPmPT0_T1_.has_dyn_sized_stack, 0
	.set _ZN7rocprim17ROCPRIM_400000_NS6detail25reduce_by_key_init_kernelINS1_19lookback_scan_stateINS0_5tupleIJjfEEELb1ELb1EEEfNS1_16block_id_wrapperIjLb1EEEEEvT_jbjPmPT0_T1_.has_recursion, 0
	.set _ZN7rocprim17ROCPRIM_400000_NS6detail25reduce_by_key_init_kernelINS1_19lookback_scan_stateINS0_5tupleIJjfEEELb1ELb1EEEfNS1_16block_id_wrapperIjLb1EEEEEvT_jbjPmPT0_T1_.has_indirect_call, 0
	.section	.AMDGPU.csdata,"",@progbits
; Kernel info:
; codeLenInByte = 720
; TotalNumSgprs: 20
; NumVgprs: 12
; ScratchSize: 0
; MemoryBound: 0
; FloatMode: 240
; IeeeMode: 1
; LDSByteSize: 0 bytes/workgroup (compile time only)
; SGPRBlocks: 0
; VGPRBlocks: 1
; NumSGPRsForWavesPerEU: 20
; NumVGPRsForWavesPerEU: 12
; Occupancy: 16
; WaveLimiterHint : 0
; COMPUTE_PGM_RSRC2:SCRATCH_EN: 0
; COMPUTE_PGM_RSRC2:USER_SGPR: 6
; COMPUTE_PGM_RSRC2:TRAP_HANDLER: 0
; COMPUTE_PGM_RSRC2:TGID_X_EN: 1
; COMPUTE_PGM_RSRC2:TGID_Y_EN: 0
; COMPUTE_PGM_RSRC2:TGID_Z_EN: 0
; COMPUTE_PGM_RSRC2:TIDIG_COMP_CNT: 0
	.section	.text._ZN7rocprim17ROCPRIM_400000_NS6detail17trampoline_kernelINS0_14default_configENS1_29reduce_by_key_config_selectorIifN6thrust23THRUST_200600_302600_NS4plusIfEEEEZZNS1_33reduce_by_key_impl_wrapped_configILNS1_25lookback_scan_determinismE0ES3_S9_NS6_6detail15normal_iteratorINS6_10device_ptrIiEEEENSD_INSE_IfEEEESG_SI_PmS8_NS6_8equal_toIiEEEE10hipError_tPvRmT2_T3_mT4_T5_T6_T7_T8_P12ihipStream_tbENKUlT_T0_E_clISt17integral_constantIbLb1EES13_EEDaSY_SZ_EUlSY_E_NS1_11comp_targetILNS1_3genE0ELNS1_11target_archE4294967295ELNS1_3gpuE0ELNS1_3repE0EEENS1_30default_config_static_selectorELNS0_4arch9wavefront6targetE0EEEvT1_,"axG",@progbits,_ZN7rocprim17ROCPRIM_400000_NS6detail17trampoline_kernelINS0_14default_configENS1_29reduce_by_key_config_selectorIifN6thrust23THRUST_200600_302600_NS4plusIfEEEEZZNS1_33reduce_by_key_impl_wrapped_configILNS1_25lookback_scan_determinismE0ES3_S9_NS6_6detail15normal_iteratorINS6_10device_ptrIiEEEENSD_INSE_IfEEEESG_SI_PmS8_NS6_8equal_toIiEEEE10hipError_tPvRmT2_T3_mT4_T5_T6_T7_T8_P12ihipStream_tbENKUlT_T0_E_clISt17integral_constantIbLb1EES13_EEDaSY_SZ_EUlSY_E_NS1_11comp_targetILNS1_3genE0ELNS1_11target_archE4294967295ELNS1_3gpuE0ELNS1_3repE0EEENS1_30default_config_static_selectorELNS0_4arch9wavefront6targetE0EEEvT1_,comdat
	.protected	_ZN7rocprim17ROCPRIM_400000_NS6detail17trampoline_kernelINS0_14default_configENS1_29reduce_by_key_config_selectorIifN6thrust23THRUST_200600_302600_NS4plusIfEEEEZZNS1_33reduce_by_key_impl_wrapped_configILNS1_25lookback_scan_determinismE0ES3_S9_NS6_6detail15normal_iteratorINS6_10device_ptrIiEEEENSD_INSE_IfEEEESG_SI_PmS8_NS6_8equal_toIiEEEE10hipError_tPvRmT2_T3_mT4_T5_T6_T7_T8_P12ihipStream_tbENKUlT_T0_E_clISt17integral_constantIbLb1EES13_EEDaSY_SZ_EUlSY_E_NS1_11comp_targetILNS1_3genE0ELNS1_11target_archE4294967295ELNS1_3gpuE0ELNS1_3repE0EEENS1_30default_config_static_selectorELNS0_4arch9wavefront6targetE0EEEvT1_ ; -- Begin function _ZN7rocprim17ROCPRIM_400000_NS6detail17trampoline_kernelINS0_14default_configENS1_29reduce_by_key_config_selectorIifN6thrust23THRUST_200600_302600_NS4plusIfEEEEZZNS1_33reduce_by_key_impl_wrapped_configILNS1_25lookback_scan_determinismE0ES3_S9_NS6_6detail15normal_iteratorINS6_10device_ptrIiEEEENSD_INSE_IfEEEESG_SI_PmS8_NS6_8equal_toIiEEEE10hipError_tPvRmT2_T3_mT4_T5_T6_T7_T8_P12ihipStream_tbENKUlT_T0_E_clISt17integral_constantIbLb1EES13_EEDaSY_SZ_EUlSY_E_NS1_11comp_targetILNS1_3genE0ELNS1_11target_archE4294967295ELNS1_3gpuE0ELNS1_3repE0EEENS1_30default_config_static_selectorELNS0_4arch9wavefront6targetE0EEEvT1_
	.globl	_ZN7rocprim17ROCPRIM_400000_NS6detail17trampoline_kernelINS0_14default_configENS1_29reduce_by_key_config_selectorIifN6thrust23THRUST_200600_302600_NS4plusIfEEEEZZNS1_33reduce_by_key_impl_wrapped_configILNS1_25lookback_scan_determinismE0ES3_S9_NS6_6detail15normal_iteratorINS6_10device_ptrIiEEEENSD_INSE_IfEEEESG_SI_PmS8_NS6_8equal_toIiEEEE10hipError_tPvRmT2_T3_mT4_T5_T6_T7_T8_P12ihipStream_tbENKUlT_T0_E_clISt17integral_constantIbLb1EES13_EEDaSY_SZ_EUlSY_E_NS1_11comp_targetILNS1_3genE0ELNS1_11target_archE4294967295ELNS1_3gpuE0ELNS1_3repE0EEENS1_30default_config_static_selectorELNS0_4arch9wavefront6targetE0EEEvT1_
	.p2align	8
	.type	_ZN7rocprim17ROCPRIM_400000_NS6detail17trampoline_kernelINS0_14default_configENS1_29reduce_by_key_config_selectorIifN6thrust23THRUST_200600_302600_NS4plusIfEEEEZZNS1_33reduce_by_key_impl_wrapped_configILNS1_25lookback_scan_determinismE0ES3_S9_NS6_6detail15normal_iteratorINS6_10device_ptrIiEEEENSD_INSE_IfEEEESG_SI_PmS8_NS6_8equal_toIiEEEE10hipError_tPvRmT2_T3_mT4_T5_T6_T7_T8_P12ihipStream_tbENKUlT_T0_E_clISt17integral_constantIbLb1EES13_EEDaSY_SZ_EUlSY_E_NS1_11comp_targetILNS1_3genE0ELNS1_11target_archE4294967295ELNS1_3gpuE0ELNS1_3repE0EEENS1_30default_config_static_selectorELNS0_4arch9wavefront6targetE0EEEvT1_,@function
_ZN7rocprim17ROCPRIM_400000_NS6detail17trampoline_kernelINS0_14default_configENS1_29reduce_by_key_config_selectorIifN6thrust23THRUST_200600_302600_NS4plusIfEEEEZZNS1_33reduce_by_key_impl_wrapped_configILNS1_25lookback_scan_determinismE0ES3_S9_NS6_6detail15normal_iteratorINS6_10device_ptrIiEEEENSD_INSE_IfEEEESG_SI_PmS8_NS6_8equal_toIiEEEE10hipError_tPvRmT2_T3_mT4_T5_T6_T7_T8_P12ihipStream_tbENKUlT_T0_E_clISt17integral_constantIbLb1EES13_EEDaSY_SZ_EUlSY_E_NS1_11comp_targetILNS1_3genE0ELNS1_11target_archE4294967295ELNS1_3gpuE0ELNS1_3repE0EEENS1_30default_config_static_selectorELNS0_4arch9wavefront6targetE0EEEvT1_: ; @_ZN7rocprim17ROCPRIM_400000_NS6detail17trampoline_kernelINS0_14default_configENS1_29reduce_by_key_config_selectorIifN6thrust23THRUST_200600_302600_NS4plusIfEEEEZZNS1_33reduce_by_key_impl_wrapped_configILNS1_25lookback_scan_determinismE0ES3_S9_NS6_6detail15normal_iteratorINS6_10device_ptrIiEEEENSD_INSE_IfEEEESG_SI_PmS8_NS6_8equal_toIiEEEE10hipError_tPvRmT2_T3_mT4_T5_T6_T7_T8_P12ihipStream_tbENKUlT_T0_E_clISt17integral_constantIbLb1EES13_EEDaSY_SZ_EUlSY_E_NS1_11comp_targetILNS1_3genE0ELNS1_11target_archE4294967295ELNS1_3gpuE0ELNS1_3repE0EEENS1_30default_config_static_selectorELNS0_4arch9wavefront6targetE0EEEvT1_
; %bb.0:
	.section	.rodata,"a",@progbits
	.p2align	6, 0x0
	.amdhsa_kernel _ZN7rocprim17ROCPRIM_400000_NS6detail17trampoline_kernelINS0_14default_configENS1_29reduce_by_key_config_selectorIifN6thrust23THRUST_200600_302600_NS4plusIfEEEEZZNS1_33reduce_by_key_impl_wrapped_configILNS1_25lookback_scan_determinismE0ES3_S9_NS6_6detail15normal_iteratorINS6_10device_ptrIiEEEENSD_INSE_IfEEEESG_SI_PmS8_NS6_8equal_toIiEEEE10hipError_tPvRmT2_T3_mT4_T5_T6_T7_T8_P12ihipStream_tbENKUlT_T0_E_clISt17integral_constantIbLb1EES13_EEDaSY_SZ_EUlSY_E_NS1_11comp_targetILNS1_3genE0ELNS1_11target_archE4294967295ELNS1_3gpuE0ELNS1_3repE0EEENS1_30default_config_static_selectorELNS0_4arch9wavefront6targetE0EEEvT1_
		.amdhsa_group_segment_fixed_size 0
		.amdhsa_private_segment_fixed_size 0
		.amdhsa_kernarg_size 120
		.amdhsa_user_sgpr_count 6
		.amdhsa_user_sgpr_private_segment_buffer 1
		.amdhsa_user_sgpr_dispatch_ptr 0
		.amdhsa_user_sgpr_queue_ptr 0
		.amdhsa_user_sgpr_kernarg_segment_ptr 1
		.amdhsa_user_sgpr_dispatch_id 0
		.amdhsa_user_sgpr_flat_scratch_init 0
		.amdhsa_user_sgpr_private_segment_size 0
		.amdhsa_wavefront_size32 1
		.amdhsa_uses_dynamic_stack 0
		.amdhsa_system_sgpr_private_segment_wavefront_offset 0
		.amdhsa_system_sgpr_workgroup_id_x 1
		.amdhsa_system_sgpr_workgroup_id_y 0
		.amdhsa_system_sgpr_workgroup_id_z 0
		.amdhsa_system_sgpr_workgroup_info 0
		.amdhsa_system_vgpr_workitem_id 0
		.amdhsa_next_free_vgpr 1
		.amdhsa_next_free_sgpr 1
		.amdhsa_reserve_vcc 0
		.amdhsa_reserve_flat_scratch 0
		.amdhsa_float_round_mode_32 0
		.amdhsa_float_round_mode_16_64 0
		.amdhsa_float_denorm_mode_32 3
		.amdhsa_float_denorm_mode_16_64 3
		.amdhsa_dx10_clamp 1
		.amdhsa_ieee_mode 1
		.amdhsa_fp16_overflow 0
		.amdhsa_workgroup_processor_mode 1
		.amdhsa_memory_ordered 1
		.amdhsa_forward_progress 1
		.amdhsa_shared_vgpr_count 0
		.amdhsa_exception_fp_ieee_invalid_op 0
		.amdhsa_exception_fp_denorm_src 0
		.amdhsa_exception_fp_ieee_div_zero 0
		.amdhsa_exception_fp_ieee_overflow 0
		.amdhsa_exception_fp_ieee_underflow 0
		.amdhsa_exception_fp_ieee_inexact 0
		.amdhsa_exception_int_div_zero 0
	.end_amdhsa_kernel
	.section	.text._ZN7rocprim17ROCPRIM_400000_NS6detail17trampoline_kernelINS0_14default_configENS1_29reduce_by_key_config_selectorIifN6thrust23THRUST_200600_302600_NS4plusIfEEEEZZNS1_33reduce_by_key_impl_wrapped_configILNS1_25lookback_scan_determinismE0ES3_S9_NS6_6detail15normal_iteratorINS6_10device_ptrIiEEEENSD_INSE_IfEEEESG_SI_PmS8_NS6_8equal_toIiEEEE10hipError_tPvRmT2_T3_mT4_T5_T6_T7_T8_P12ihipStream_tbENKUlT_T0_E_clISt17integral_constantIbLb1EES13_EEDaSY_SZ_EUlSY_E_NS1_11comp_targetILNS1_3genE0ELNS1_11target_archE4294967295ELNS1_3gpuE0ELNS1_3repE0EEENS1_30default_config_static_selectorELNS0_4arch9wavefront6targetE0EEEvT1_,"axG",@progbits,_ZN7rocprim17ROCPRIM_400000_NS6detail17trampoline_kernelINS0_14default_configENS1_29reduce_by_key_config_selectorIifN6thrust23THRUST_200600_302600_NS4plusIfEEEEZZNS1_33reduce_by_key_impl_wrapped_configILNS1_25lookback_scan_determinismE0ES3_S9_NS6_6detail15normal_iteratorINS6_10device_ptrIiEEEENSD_INSE_IfEEEESG_SI_PmS8_NS6_8equal_toIiEEEE10hipError_tPvRmT2_T3_mT4_T5_T6_T7_T8_P12ihipStream_tbENKUlT_T0_E_clISt17integral_constantIbLb1EES13_EEDaSY_SZ_EUlSY_E_NS1_11comp_targetILNS1_3genE0ELNS1_11target_archE4294967295ELNS1_3gpuE0ELNS1_3repE0EEENS1_30default_config_static_selectorELNS0_4arch9wavefront6targetE0EEEvT1_,comdat
.Lfunc_end76:
	.size	_ZN7rocprim17ROCPRIM_400000_NS6detail17trampoline_kernelINS0_14default_configENS1_29reduce_by_key_config_selectorIifN6thrust23THRUST_200600_302600_NS4plusIfEEEEZZNS1_33reduce_by_key_impl_wrapped_configILNS1_25lookback_scan_determinismE0ES3_S9_NS6_6detail15normal_iteratorINS6_10device_ptrIiEEEENSD_INSE_IfEEEESG_SI_PmS8_NS6_8equal_toIiEEEE10hipError_tPvRmT2_T3_mT4_T5_T6_T7_T8_P12ihipStream_tbENKUlT_T0_E_clISt17integral_constantIbLb1EES13_EEDaSY_SZ_EUlSY_E_NS1_11comp_targetILNS1_3genE0ELNS1_11target_archE4294967295ELNS1_3gpuE0ELNS1_3repE0EEENS1_30default_config_static_selectorELNS0_4arch9wavefront6targetE0EEEvT1_, .Lfunc_end76-_ZN7rocprim17ROCPRIM_400000_NS6detail17trampoline_kernelINS0_14default_configENS1_29reduce_by_key_config_selectorIifN6thrust23THRUST_200600_302600_NS4plusIfEEEEZZNS1_33reduce_by_key_impl_wrapped_configILNS1_25lookback_scan_determinismE0ES3_S9_NS6_6detail15normal_iteratorINS6_10device_ptrIiEEEENSD_INSE_IfEEEESG_SI_PmS8_NS6_8equal_toIiEEEE10hipError_tPvRmT2_T3_mT4_T5_T6_T7_T8_P12ihipStream_tbENKUlT_T0_E_clISt17integral_constantIbLb1EES13_EEDaSY_SZ_EUlSY_E_NS1_11comp_targetILNS1_3genE0ELNS1_11target_archE4294967295ELNS1_3gpuE0ELNS1_3repE0EEENS1_30default_config_static_selectorELNS0_4arch9wavefront6targetE0EEEvT1_
                                        ; -- End function
	.set _ZN7rocprim17ROCPRIM_400000_NS6detail17trampoline_kernelINS0_14default_configENS1_29reduce_by_key_config_selectorIifN6thrust23THRUST_200600_302600_NS4plusIfEEEEZZNS1_33reduce_by_key_impl_wrapped_configILNS1_25lookback_scan_determinismE0ES3_S9_NS6_6detail15normal_iteratorINS6_10device_ptrIiEEEENSD_INSE_IfEEEESG_SI_PmS8_NS6_8equal_toIiEEEE10hipError_tPvRmT2_T3_mT4_T5_T6_T7_T8_P12ihipStream_tbENKUlT_T0_E_clISt17integral_constantIbLb1EES13_EEDaSY_SZ_EUlSY_E_NS1_11comp_targetILNS1_3genE0ELNS1_11target_archE4294967295ELNS1_3gpuE0ELNS1_3repE0EEENS1_30default_config_static_selectorELNS0_4arch9wavefront6targetE0EEEvT1_.num_vgpr, 0
	.set _ZN7rocprim17ROCPRIM_400000_NS6detail17trampoline_kernelINS0_14default_configENS1_29reduce_by_key_config_selectorIifN6thrust23THRUST_200600_302600_NS4plusIfEEEEZZNS1_33reduce_by_key_impl_wrapped_configILNS1_25lookback_scan_determinismE0ES3_S9_NS6_6detail15normal_iteratorINS6_10device_ptrIiEEEENSD_INSE_IfEEEESG_SI_PmS8_NS6_8equal_toIiEEEE10hipError_tPvRmT2_T3_mT4_T5_T6_T7_T8_P12ihipStream_tbENKUlT_T0_E_clISt17integral_constantIbLb1EES13_EEDaSY_SZ_EUlSY_E_NS1_11comp_targetILNS1_3genE0ELNS1_11target_archE4294967295ELNS1_3gpuE0ELNS1_3repE0EEENS1_30default_config_static_selectorELNS0_4arch9wavefront6targetE0EEEvT1_.num_agpr, 0
	.set _ZN7rocprim17ROCPRIM_400000_NS6detail17trampoline_kernelINS0_14default_configENS1_29reduce_by_key_config_selectorIifN6thrust23THRUST_200600_302600_NS4plusIfEEEEZZNS1_33reduce_by_key_impl_wrapped_configILNS1_25lookback_scan_determinismE0ES3_S9_NS6_6detail15normal_iteratorINS6_10device_ptrIiEEEENSD_INSE_IfEEEESG_SI_PmS8_NS6_8equal_toIiEEEE10hipError_tPvRmT2_T3_mT4_T5_T6_T7_T8_P12ihipStream_tbENKUlT_T0_E_clISt17integral_constantIbLb1EES13_EEDaSY_SZ_EUlSY_E_NS1_11comp_targetILNS1_3genE0ELNS1_11target_archE4294967295ELNS1_3gpuE0ELNS1_3repE0EEENS1_30default_config_static_selectorELNS0_4arch9wavefront6targetE0EEEvT1_.numbered_sgpr, 0
	.set _ZN7rocprim17ROCPRIM_400000_NS6detail17trampoline_kernelINS0_14default_configENS1_29reduce_by_key_config_selectorIifN6thrust23THRUST_200600_302600_NS4plusIfEEEEZZNS1_33reduce_by_key_impl_wrapped_configILNS1_25lookback_scan_determinismE0ES3_S9_NS6_6detail15normal_iteratorINS6_10device_ptrIiEEEENSD_INSE_IfEEEESG_SI_PmS8_NS6_8equal_toIiEEEE10hipError_tPvRmT2_T3_mT4_T5_T6_T7_T8_P12ihipStream_tbENKUlT_T0_E_clISt17integral_constantIbLb1EES13_EEDaSY_SZ_EUlSY_E_NS1_11comp_targetILNS1_3genE0ELNS1_11target_archE4294967295ELNS1_3gpuE0ELNS1_3repE0EEENS1_30default_config_static_selectorELNS0_4arch9wavefront6targetE0EEEvT1_.num_named_barrier, 0
	.set _ZN7rocprim17ROCPRIM_400000_NS6detail17trampoline_kernelINS0_14default_configENS1_29reduce_by_key_config_selectorIifN6thrust23THRUST_200600_302600_NS4plusIfEEEEZZNS1_33reduce_by_key_impl_wrapped_configILNS1_25lookback_scan_determinismE0ES3_S9_NS6_6detail15normal_iteratorINS6_10device_ptrIiEEEENSD_INSE_IfEEEESG_SI_PmS8_NS6_8equal_toIiEEEE10hipError_tPvRmT2_T3_mT4_T5_T6_T7_T8_P12ihipStream_tbENKUlT_T0_E_clISt17integral_constantIbLb1EES13_EEDaSY_SZ_EUlSY_E_NS1_11comp_targetILNS1_3genE0ELNS1_11target_archE4294967295ELNS1_3gpuE0ELNS1_3repE0EEENS1_30default_config_static_selectorELNS0_4arch9wavefront6targetE0EEEvT1_.private_seg_size, 0
	.set _ZN7rocprim17ROCPRIM_400000_NS6detail17trampoline_kernelINS0_14default_configENS1_29reduce_by_key_config_selectorIifN6thrust23THRUST_200600_302600_NS4plusIfEEEEZZNS1_33reduce_by_key_impl_wrapped_configILNS1_25lookback_scan_determinismE0ES3_S9_NS6_6detail15normal_iteratorINS6_10device_ptrIiEEEENSD_INSE_IfEEEESG_SI_PmS8_NS6_8equal_toIiEEEE10hipError_tPvRmT2_T3_mT4_T5_T6_T7_T8_P12ihipStream_tbENKUlT_T0_E_clISt17integral_constantIbLb1EES13_EEDaSY_SZ_EUlSY_E_NS1_11comp_targetILNS1_3genE0ELNS1_11target_archE4294967295ELNS1_3gpuE0ELNS1_3repE0EEENS1_30default_config_static_selectorELNS0_4arch9wavefront6targetE0EEEvT1_.uses_vcc, 0
	.set _ZN7rocprim17ROCPRIM_400000_NS6detail17trampoline_kernelINS0_14default_configENS1_29reduce_by_key_config_selectorIifN6thrust23THRUST_200600_302600_NS4plusIfEEEEZZNS1_33reduce_by_key_impl_wrapped_configILNS1_25lookback_scan_determinismE0ES3_S9_NS6_6detail15normal_iteratorINS6_10device_ptrIiEEEENSD_INSE_IfEEEESG_SI_PmS8_NS6_8equal_toIiEEEE10hipError_tPvRmT2_T3_mT4_T5_T6_T7_T8_P12ihipStream_tbENKUlT_T0_E_clISt17integral_constantIbLb1EES13_EEDaSY_SZ_EUlSY_E_NS1_11comp_targetILNS1_3genE0ELNS1_11target_archE4294967295ELNS1_3gpuE0ELNS1_3repE0EEENS1_30default_config_static_selectorELNS0_4arch9wavefront6targetE0EEEvT1_.uses_flat_scratch, 0
	.set _ZN7rocprim17ROCPRIM_400000_NS6detail17trampoline_kernelINS0_14default_configENS1_29reduce_by_key_config_selectorIifN6thrust23THRUST_200600_302600_NS4plusIfEEEEZZNS1_33reduce_by_key_impl_wrapped_configILNS1_25lookback_scan_determinismE0ES3_S9_NS6_6detail15normal_iteratorINS6_10device_ptrIiEEEENSD_INSE_IfEEEESG_SI_PmS8_NS6_8equal_toIiEEEE10hipError_tPvRmT2_T3_mT4_T5_T6_T7_T8_P12ihipStream_tbENKUlT_T0_E_clISt17integral_constantIbLb1EES13_EEDaSY_SZ_EUlSY_E_NS1_11comp_targetILNS1_3genE0ELNS1_11target_archE4294967295ELNS1_3gpuE0ELNS1_3repE0EEENS1_30default_config_static_selectorELNS0_4arch9wavefront6targetE0EEEvT1_.has_dyn_sized_stack, 0
	.set _ZN7rocprim17ROCPRIM_400000_NS6detail17trampoline_kernelINS0_14default_configENS1_29reduce_by_key_config_selectorIifN6thrust23THRUST_200600_302600_NS4plusIfEEEEZZNS1_33reduce_by_key_impl_wrapped_configILNS1_25lookback_scan_determinismE0ES3_S9_NS6_6detail15normal_iteratorINS6_10device_ptrIiEEEENSD_INSE_IfEEEESG_SI_PmS8_NS6_8equal_toIiEEEE10hipError_tPvRmT2_T3_mT4_T5_T6_T7_T8_P12ihipStream_tbENKUlT_T0_E_clISt17integral_constantIbLb1EES13_EEDaSY_SZ_EUlSY_E_NS1_11comp_targetILNS1_3genE0ELNS1_11target_archE4294967295ELNS1_3gpuE0ELNS1_3repE0EEENS1_30default_config_static_selectorELNS0_4arch9wavefront6targetE0EEEvT1_.has_recursion, 0
	.set _ZN7rocprim17ROCPRIM_400000_NS6detail17trampoline_kernelINS0_14default_configENS1_29reduce_by_key_config_selectorIifN6thrust23THRUST_200600_302600_NS4plusIfEEEEZZNS1_33reduce_by_key_impl_wrapped_configILNS1_25lookback_scan_determinismE0ES3_S9_NS6_6detail15normal_iteratorINS6_10device_ptrIiEEEENSD_INSE_IfEEEESG_SI_PmS8_NS6_8equal_toIiEEEE10hipError_tPvRmT2_T3_mT4_T5_T6_T7_T8_P12ihipStream_tbENKUlT_T0_E_clISt17integral_constantIbLb1EES13_EEDaSY_SZ_EUlSY_E_NS1_11comp_targetILNS1_3genE0ELNS1_11target_archE4294967295ELNS1_3gpuE0ELNS1_3repE0EEENS1_30default_config_static_selectorELNS0_4arch9wavefront6targetE0EEEvT1_.has_indirect_call, 0
	.section	.AMDGPU.csdata,"",@progbits
; Kernel info:
; codeLenInByte = 0
; TotalNumSgprs: 0
; NumVgprs: 0
; ScratchSize: 0
; MemoryBound: 0
; FloatMode: 240
; IeeeMode: 1
; LDSByteSize: 0 bytes/workgroup (compile time only)
; SGPRBlocks: 0
; VGPRBlocks: 0
; NumSGPRsForWavesPerEU: 1
; NumVGPRsForWavesPerEU: 1
; Occupancy: 16
; WaveLimiterHint : 0
; COMPUTE_PGM_RSRC2:SCRATCH_EN: 0
; COMPUTE_PGM_RSRC2:USER_SGPR: 6
; COMPUTE_PGM_RSRC2:TRAP_HANDLER: 0
; COMPUTE_PGM_RSRC2:TGID_X_EN: 1
; COMPUTE_PGM_RSRC2:TGID_Y_EN: 0
; COMPUTE_PGM_RSRC2:TGID_Z_EN: 0
; COMPUTE_PGM_RSRC2:TIDIG_COMP_CNT: 0
	.section	.text._ZN7rocprim17ROCPRIM_400000_NS6detail17trampoline_kernelINS0_14default_configENS1_29reduce_by_key_config_selectorIifN6thrust23THRUST_200600_302600_NS4plusIfEEEEZZNS1_33reduce_by_key_impl_wrapped_configILNS1_25lookback_scan_determinismE0ES3_S9_NS6_6detail15normal_iteratorINS6_10device_ptrIiEEEENSD_INSE_IfEEEESG_SI_PmS8_NS6_8equal_toIiEEEE10hipError_tPvRmT2_T3_mT4_T5_T6_T7_T8_P12ihipStream_tbENKUlT_T0_E_clISt17integral_constantIbLb1EES13_EEDaSY_SZ_EUlSY_E_NS1_11comp_targetILNS1_3genE5ELNS1_11target_archE942ELNS1_3gpuE9ELNS1_3repE0EEENS1_30default_config_static_selectorELNS0_4arch9wavefront6targetE0EEEvT1_,"axG",@progbits,_ZN7rocprim17ROCPRIM_400000_NS6detail17trampoline_kernelINS0_14default_configENS1_29reduce_by_key_config_selectorIifN6thrust23THRUST_200600_302600_NS4plusIfEEEEZZNS1_33reduce_by_key_impl_wrapped_configILNS1_25lookback_scan_determinismE0ES3_S9_NS6_6detail15normal_iteratorINS6_10device_ptrIiEEEENSD_INSE_IfEEEESG_SI_PmS8_NS6_8equal_toIiEEEE10hipError_tPvRmT2_T3_mT4_T5_T6_T7_T8_P12ihipStream_tbENKUlT_T0_E_clISt17integral_constantIbLb1EES13_EEDaSY_SZ_EUlSY_E_NS1_11comp_targetILNS1_3genE5ELNS1_11target_archE942ELNS1_3gpuE9ELNS1_3repE0EEENS1_30default_config_static_selectorELNS0_4arch9wavefront6targetE0EEEvT1_,comdat
	.protected	_ZN7rocprim17ROCPRIM_400000_NS6detail17trampoline_kernelINS0_14default_configENS1_29reduce_by_key_config_selectorIifN6thrust23THRUST_200600_302600_NS4plusIfEEEEZZNS1_33reduce_by_key_impl_wrapped_configILNS1_25lookback_scan_determinismE0ES3_S9_NS6_6detail15normal_iteratorINS6_10device_ptrIiEEEENSD_INSE_IfEEEESG_SI_PmS8_NS6_8equal_toIiEEEE10hipError_tPvRmT2_T3_mT4_T5_T6_T7_T8_P12ihipStream_tbENKUlT_T0_E_clISt17integral_constantIbLb1EES13_EEDaSY_SZ_EUlSY_E_NS1_11comp_targetILNS1_3genE5ELNS1_11target_archE942ELNS1_3gpuE9ELNS1_3repE0EEENS1_30default_config_static_selectorELNS0_4arch9wavefront6targetE0EEEvT1_ ; -- Begin function _ZN7rocprim17ROCPRIM_400000_NS6detail17trampoline_kernelINS0_14default_configENS1_29reduce_by_key_config_selectorIifN6thrust23THRUST_200600_302600_NS4plusIfEEEEZZNS1_33reduce_by_key_impl_wrapped_configILNS1_25lookback_scan_determinismE0ES3_S9_NS6_6detail15normal_iteratorINS6_10device_ptrIiEEEENSD_INSE_IfEEEESG_SI_PmS8_NS6_8equal_toIiEEEE10hipError_tPvRmT2_T3_mT4_T5_T6_T7_T8_P12ihipStream_tbENKUlT_T0_E_clISt17integral_constantIbLb1EES13_EEDaSY_SZ_EUlSY_E_NS1_11comp_targetILNS1_3genE5ELNS1_11target_archE942ELNS1_3gpuE9ELNS1_3repE0EEENS1_30default_config_static_selectorELNS0_4arch9wavefront6targetE0EEEvT1_
	.globl	_ZN7rocprim17ROCPRIM_400000_NS6detail17trampoline_kernelINS0_14default_configENS1_29reduce_by_key_config_selectorIifN6thrust23THRUST_200600_302600_NS4plusIfEEEEZZNS1_33reduce_by_key_impl_wrapped_configILNS1_25lookback_scan_determinismE0ES3_S9_NS6_6detail15normal_iteratorINS6_10device_ptrIiEEEENSD_INSE_IfEEEESG_SI_PmS8_NS6_8equal_toIiEEEE10hipError_tPvRmT2_T3_mT4_T5_T6_T7_T8_P12ihipStream_tbENKUlT_T0_E_clISt17integral_constantIbLb1EES13_EEDaSY_SZ_EUlSY_E_NS1_11comp_targetILNS1_3genE5ELNS1_11target_archE942ELNS1_3gpuE9ELNS1_3repE0EEENS1_30default_config_static_selectorELNS0_4arch9wavefront6targetE0EEEvT1_
	.p2align	8
	.type	_ZN7rocprim17ROCPRIM_400000_NS6detail17trampoline_kernelINS0_14default_configENS1_29reduce_by_key_config_selectorIifN6thrust23THRUST_200600_302600_NS4plusIfEEEEZZNS1_33reduce_by_key_impl_wrapped_configILNS1_25lookback_scan_determinismE0ES3_S9_NS6_6detail15normal_iteratorINS6_10device_ptrIiEEEENSD_INSE_IfEEEESG_SI_PmS8_NS6_8equal_toIiEEEE10hipError_tPvRmT2_T3_mT4_T5_T6_T7_T8_P12ihipStream_tbENKUlT_T0_E_clISt17integral_constantIbLb1EES13_EEDaSY_SZ_EUlSY_E_NS1_11comp_targetILNS1_3genE5ELNS1_11target_archE942ELNS1_3gpuE9ELNS1_3repE0EEENS1_30default_config_static_selectorELNS0_4arch9wavefront6targetE0EEEvT1_,@function
_ZN7rocprim17ROCPRIM_400000_NS6detail17trampoline_kernelINS0_14default_configENS1_29reduce_by_key_config_selectorIifN6thrust23THRUST_200600_302600_NS4plusIfEEEEZZNS1_33reduce_by_key_impl_wrapped_configILNS1_25lookback_scan_determinismE0ES3_S9_NS6_6detail15normal_iteratorINS6_10device_ptrIiEEEENSD_INSE_IfEEEESG_SI_PmS8_NS6_8equal_toIiEEEE10hipError_tPvRmT2_T3_mT4_T5_T6_T7_T8_P12ihipStream_tbENKUlT_T0_E_clISt17integral_constantIbLb1EES13_EEDaSY_SZ_EUlSY_E_NS1_11comp_targetILNS1_3genE5ELNS1_11target_archE942ELNS1_3gpuE9ELNS1_3repE0EEENS1_30default_config_static_selectorELNS0_4arch9wavefront6targetE0EEEvT1_: ; @_ZN7rocprim17ROCPRIM_400000_NS6detail17trampoline_kernelINS0_14default_configENS1_29reduce_by_key_config_selectorIifN6thrust23THRUST_200600_302600_NS4plusIfEEEEZZNS1_33reduce_by_key_impl_wrapped_configILNS1_25lookback_scan_determinismE0ES3_S9_NS6_6detail15normal_iteratorINS6_10device_ptrIiEEEENSD_INSE_IfEEEESG_SI_PmS8_NS6_8equal_toIiEEEE10hipError_tPvRmT2_T3_mT4_T5_T6_T7_T8_P12ihipStream_tbENKUlT_T0_E_clISt17integral_constantIbLb1EES13_EEDaSY_SZ_EUlSY_E_NS1_11comp_targetILNS1_3genE5ELNS1_11target_archE942ELNS1_3gpuE9ELNS1_3repE0EEENS1_30default_config_static_selectorELNS0_4arch9wavefront6targetE0EEEvT1_
; %bb.0:
	.section	.rodata,"a",@progbits
	.p2align	6, 0x0
	.amdhsa_kernel _ZN7rocprim17ROCPRIM_400000_NS6detail17trampoline_kernelINS0_14default_configENS1_29reduce_by_key_config_selectorIifN6thrust23THRUST_200600_302600_NS4plusIfEEEEZZNS1_33reduce_by_key_impl_wrapped_configILNS1_25lookback_scan_determinismE0ES3_S9_NS6_6detail15normal_iteratorINS6_10device_ptrIiEEEENSD_INSE_IfEEEESG_SI_PmS8_NS6_8equal_toIiEEEE10hipError_tPvRmT2_T3_mT4_T5_T6_T7_T8_P12ihipStream_tbENKUlT_T0_E_clISt17integral_constantIbLb1EES13_EEDaSY_SZ_EUlSY_E_NS1_11comp_targetILNS1_3genE5ELNS1_11target_archE942ELNS1_3gpuE9ELNS1_3repE0EEENS1_30default_config_static_selectorELNS0_4arch9wavefront6targetE0EEEvT1_
		.amdhsa_group_segment_fixed_size 0
		.amdhsa_private_segment_fixed_size 0
		.amdhsa_kernarg_size 120
		.amdhsa_user_sgpr_count 6
		.amdhsa_user_sgpr_private_segment_buffer 1
		.amdhsa_user_sgpr_dispatch_ptr 0
		.amdhsa_user_sgpr_queue_ptr 0
		.amdhsa_user_sgpr_kernarg_segment_ptr 1
		.amdhsa_user_sgpr_dispatch_id 0
		.amdhsa_user_sgpr_flat_scratch_init 0
		.amdhsa_user_sgpr_private_segment_size 0
		.amdhsa_wavefront_size32 1
		.amdhsa_uses_dynamic_stack 0
		.amdhsa_system_sgpr_private_segment_wavefront_offset 0
		.amdhsa_system_sgpr_workgroup_id_x 1
		.amdhsa_system_sgpr_workgroup_id_y 0
		.amdhsa_system_sgpr_workgroup_id_z 0
		.amdhsa_system_sgpr_workgroup_info 0
		.amdhsa_system_vgpr_workitem_id 0
		.amdhsa_next_free_vgpr 1
		.amdhsa_next_free_sgpr 1
		.amdhsa_reserve_vcc 0
		.amdhsa_reserve_flat_scratch 0
		.amdhsa_float_round_mode_32 0
		.amdhsa_float_round_mode_16_64 0
		.amdhsa_float_denorm_mode_32 3
		.amdhsa_float_denorm_mode_16_64 3
		.amdhsa_dx10_clamp 1
		.amdhsa_ieee_mode 1
		.amdhsa_fp16_overflow 0
		.amdhsa_workgroup_processor_mode 1
		.amdhsa_memory_ordered 1
		.amdhsa_forward_progress 1
		.amdhsa_shared_vgpr_count 0
		.amdhsa_exception_fp_ieee_invalid_op 0
		.amdhsa_exception_fp_denorm_src 0
		.amdhsa_exception_fp_ieee_div_zero 0
		.amdhsa_exception_fp_ieee_overflow 0
		.amdhsa_exception_fp_ieee_underflow 0
		.amdhsa_exception_fp_ieee_inexact 0
		.amdhsa_exception_int_div_zero 0
	.end_amdhsa_kernel
	.section	.text._ZN7rocprim17ROCPRIM_400000_NS6detail17trampoline_kernelINS0_14default_configENS1_29reduce_by_key_config_selectorIifN6thrust23THRUST_200600_302600_NS4plusIfEEEEZZNS1_33reduce_by_key_impl_wrapped_configILNS1_25lookback_scan_determinismE0ES3_S9_NS6_6detail15normal_iteratorINS6_10device_ptrIiEEEENSD_INSE_IfEEEESG_SI_PmS8_NS6_8equal_toIiEEEE10hipError_tPvRmT2_T3_mT4_T5_T6_T7_T8_P12ihipStream_tbENKUlT_T0_E_clISt17integral_constantIbLb1EES13_EEDaSY_SZ_EUlSY_E_NS1_11comp_targetILNS1_3genE5ELNS1_11target_archE942ELNS1_3gpuE9ELNS1_3repE0EEENS1_30default_config_static_selectorELNS0_4arch9wavefront6targetE0EEEvT1_,"axG",@progbits,_ZN7rocprim17ROCPRIM_400000_NS6detail17trampoline_kernelINS0_14default_configENS1_29reduce_by_key_config_selectorIifN6thrust23THRUST_200600_302600_NS4plusIfEEEEZZNS1_33reduce_by_key_impl_wrapped_configILNS1_25lookback_scan_determinismE0ES3_S9_NS6_6detail15normal_iteratorINS6_10device_ptrIiEEEENSD_INSE_IfEEEESG_SI_PmS8_NS6_8equal_toIiEEEE10hipError_tPvRmT2_T3_mT4_T5_T6_T7_T8_P12ihipStream_tbENKUlT_T0_E_clISt17integral_constantIbLb1EES13_EEDaSY_SZ_EUlSY_E_NS1_11comp_targetILNS1_3genE5ELNS1_11target_archE942ELNS1_3gpuE9ELNS1_3repE0EEENS1_30default_config_static_selectorELNS0_4arch9wavefront6targetE0EEEvT1_,comdat
.Lfunc_end77:
	.size	_ZN7rocprim17ROCPRIM_400000_NS6detail17trampoline_kernelINS0_14default_configENS1_29reduce_by_key_config_selectorIifN6thrust23THRUST_200600_302600_NS4plusIfEEEEZZNS1_33reduce_by_key_impl_wrapped_configILNS1_25lookback_scan_determinismE0ES3_S9_NS6_6detail15normal_iteratorINS6_10device_ptrIiEEEENSD_INSE_IfEEEESG_SI_PmS8_NS6_8equal_toIiEEEE10hipError_tPvRmT2_T3_mT4_T5_T6_T7_T8_P12ihipStream_tbENKUlT_T0_E_clISt17integral_constantIbLb1EES13_EEDaSY_SZ_EUlSY_E_NS1_11comp_targetILNS1_3genE5ELNS1_11target_archE942ELNS1_3gpuE9ELNS1_3repE0EEENS1_30default_config_static_selectorELNS0_4arch9wavefront6targetE0EEEvT1_, .Lfunc_end77-_ZN7rocprim17ROCPRIM_400000_NS6detail17trampoline_kernelINS0_14default_configENS1_29reduce_by_key_config_selectorIifN6thrust23THRUST_200600_302600_NS4plusIfEEEEZZNS1_33reduce_by_key_impl_wrapped_configILNS1_25lookback_scan_determinismE0ES3_S9_NS6_6detail15normal_iteratorINS6_10device_ptrIiEEEENSD_INSE_IfEEEESG_SI_PmS8_NS6_8equal_toIiEEEE10hipError_tPvRmT2_T3_mT4_T5_T6_T7_T8_P12ihipStream_tbENKUlT_T0_E_clISt17integral_constantIbLb1EES13_EEDaSY_SZ_EUlSY_E_NS1_11comp_targetILNS1_3genE5ELNS1_11target_archE942ELNS1_3gpuE9ELNS1_3repE0EEENS1_30default_config_static_selectorELNS0_4arch9wavefront6targetE0EEEvT1_
                                        ; -- End function
	.set _ZN7rocprim17ROCPRIM_400000_NS6detail17trampoline_kernelINS0_14default_configENS1_29reduce_by_key_config_selectorIifN6thrust23THRUST_200600_302600_NS4plusIfEEEEZZNS1_33reduce_by_key_impl_wrapped_configILNS1_25lookback_scan_determinismE0ES3_S9_NS6_6detail15normal_iteratorINS6_10device_ptrIiEEEENSD_INSE_IfEEEESG_SI_PmS8_NS6_8equal_toIiEEEE10hipError_tPvRmT2_T3_mT4_T5_T6_T7_T8_P12ihipStream_tbENKUlT_T0_E_clISt17integral_constantIbLb1EES13_EEDaSY_SZ_EUlSY_E_NS1_11comp_targetILNS1_3genE5ELNS1_11target_archE942ELNS1_3gpuE9ELNS1_3repE0EEENS1_30default_config_static_selectorELNS0_4arch9wavefront6targetE0EEEvT1_.num_vgpr, 0
	.set _ZN7rocprim17ROCPRIM_400000_NS6detail17trampoline_kernelINS0_14default_configENS1_29reduce_by_key_config_selectorIifN6thrust23THRUST_200600_302600_NS4plusIfEEEEZZNS1_33reduce_by_key_impl_wrapped_configILNS1_25lookback_scan_determinismE0ES3_S9_NS6_6detail15normal_iteratorINS6_10device_ptrIiEEEENSD_INSE_IfEEEESG_SI_PmS8_NS6_8equal_toIiEEEE10hipError_tPvRmT2_T3_mT4_T5_T6_T7_T8_P12ihipStream_tbENKUlT_T0_E_clISt17integral_constantIbLb1EES13_EEDaSY_SZ_EUlSY_E_NS1_11comp_targetILNS1_3genE5ELNS1_11target_archE942ELNS1_3gpuE9ELNS1_3repE0EEENS1_30default_config_static_selectorELNS0_4arch9wavefront6targetE0EEEvT1_.num_agpr, 0
	.set _ZN7rocprim17ROCPRIM_400000_NS6detail17trampoline_kernelINS0_14default_configENS1_29reduce_by_key_config_selectorIifN6thrust23THRUST_200600_302600_NS4plusIfEEEEZZNS1_33reduce_by_key_impl_wrapped_configILNS1_25lookback_scan_determinismE0ES3_S9_NS6_6detail15normal_iteratorINS6_10device_ptrIiEEEENSD_INSE_IfEEEESG_SI_PmS8_NS6_8equal_toIiEEEE10hipError_tPvRmT2_T3_mT4_T5_T6_T7_T8_P12ihipStream_tbENKUlT_T0_E_clISt17integral_constantIbLb1EES13_EEDaSY_SZ_EUlSY_E_NS1_11comp_targetILNS1_3genE5ELNS1_11target_archE942ELNS1_3gpuE9ELNS1_3repE0EEENS1_30default_config_static_selectorELNS0_4arch9wavefront6targetE0EEEvT1_.numbered_sgpr, 0
	.set _ZN7rocprim17ROCPRIM_400000_NS6detail17trampoline_kernelINS0_14default_configENS1_29reduce_by_key_config_selectorIifN6thrust23THRUST_200600_302600_NS4plusIfEEEEZZNS1_33reduce_by_key_impl_wrapped_configILNS1_25lookback_scan_determinismE0ES3_S9_NS6_6detail15normal_iteratorINS6_10device_ptrIiEEEENSD_INSE_IfEEEESG_SI_PmS8_NS6_8equal_toIiEEEE10hipError_tPvRmT2_T3_mT4_T5_T6_T7_T8_P12ihipStream_tbENKUlT_T0_E_clISt17integral_constantIbLb1EES13_EEDaSY_SZ_EUlSY_E_NS1_11comp_targetILNS1_3genE5ELNS1_11target_archE942ELNS1_3gpuE9ELNS1_3repE0EEENS1_30default_config_static_selectorELNS0_4arch9wavefront6targetE0EEEvT1_.num_named_barrier, 0
	.set _ZN7rocprim17ROCPRIM_400000_NS6detail17trampoline_kernelINS0_14default_configENS1_29reduce_by_key_config_selectorIifN6thrust23THRUST_200600_302600_NS4plusIfEEEEZZNS1_33reduce_by_key_impl_wrapped_configILNS1_25lookback_scan_determinismE0ES3_S9_NS6_6detail15normal_iteratorINS6_10device_ptrIiEEEENSD_INSE_IfEEEESG_SI_PmS8_NS6_8equal_toIiEEEE10hipError_tPvRmT2_T3_mT4_T5_T6_T7_T8_P12ihipStream_tbENKUlT_T0_E_clISt17integral_constantIbLb1EES13_EEDaSY_SZ_EUlSY_E_NS1_11comp_targetILNS1_3genE5ELNS1_11target_archE942ELNS1_3gpuE9ELNS1_3repE0EEENS1_30default_config_static_selectorELNS0_4arch9wavefront6targetE0EEEvT1_.private_seg_size, 0
	.set _ZN7rocprim17ROCPRIM_400000_NS6detail17trampoline_kernelINS0_14default_configENS1_29reduce_by_key_config_selectorIifN6thrust23THRUST_200600_302600_NS4plusIfEEEEZZNS1_33reduce_by_key_impl_wrapped_configILNS1_25lookback_scan_determinismE0ES3_S9_NS6_6detail15normal_iteratorINS6_10device_ptrIiEEEENSD_INSE_IfEEEESG_SI_PmS8_NS6_8equal_toIiEEEE10hipError_tPvRmT2_T3_mT4_T5_T6_T7_T8_P12ihipStream_tbENKUlT_T0_E_clISt17integral_constantIbLb1EES13_EEDaSY_SZ_EUlSY_E_NS1_11comp_targetILNS1_3genE5ELNS1_11target_archE942ELNS1_3gpuE9ELNS1_3repE0EEENS1_30default_config_static_selectorELNS0_4arch9wavefront6targetE0EEEvT1_.uses_vcc, 0
	.set _ZN7rocprim17ROCPRIM_400000_NS6detail17trampoline_kernelINS0_14default_configENS1_29reduce_by_key_config_selectorIifN6thrust23THRUST_200600_302600_NS4plusIfEEEEZZNS1_33reduce_by_key_impl_wrapped_configILNS1_25lookback_scan_determinismE0ES3_S9_NS6_6detail15normal_iteratorINS6_10device_ptrIiEEEENSD_INSE_IfEEEESG_SI_PmS8_NS6_8equal_toIiEEEE10hipError_tPvRmT2_T3_mT4_T5_T6_T7_T8_P12ihipStream_tbENKUlT_T0_E_clISt17integral_constantIbLb1EES13_EEDaSY_SZ_EUlSY_E_NS1_11comp_targetILNS1_3genE5ELNS1_11target_archE942ELNS1_3gpuE9ELNS1_3repE0EEENS1_30default_config_static_selectorELNS0_4arch9wavefront6targetE0EEEvT1_.uses_flat_scratch, 0
	.set _ZN7rocprim17ROCPRIM_400000_NS6detail17trampoline_kernelINS0_14default_configENS1_29reduce_by_key_config_selectorIifN6thrust23THRUST_200600_302600_NS4plusIfEEEEZZNS1_33reduce_by_key_impl_wrapped_configILNS1_25lookback_scan_determinismE0ES3_S9_NS6_6detail15normal_iteratorINS6_10device_ptrIiEEEENSD_INSE_IfEEEESG_SI_PmS8_NS6_8equal_toIiEEEE10hipError_tPvRmT2_T3_mT4_T5_T6_T7_T8_P12ihipStream_tbENKUlT_T0_E_clISt17integral_constantIbLb1EES13_EEDaSY_SZ_EUlSY_E_NS1_11comp_targetILNS1_3genE5ELNS1_11target_archE942ELNS1_3gpuE9ELNS1_3repE0EEENS1_30default_config_static_selectorELNS0_4arch9wavefront6targetE0EEEvT1_.has_dyn_sized_stack, 0
	.set _ZN7rocprim17ROCPRIM_400000_NS6detail17trampoline_kernelINS0_14default_configENS1_29reduce_by_key_config_selectorIifN6thrust23THRUST_200600_302600_NS4plusIfEEEEZZNS1_33reduce_by_key_impl_wrapped_configILNS1_25lookback_scan_determinismE0ES3_S9_NS6_6detail15normal_iteratorINS6_10device_ptrIiEEEENSD_INSE_IfEEEESG_SI_PmS8_NS6_8equal_toIiEEEE10hipError_tPvRmT2_T3_mT4_T5_T6_T7_T8_P12ihipStream_tbENKUlT_T0_E_clISt17integral_constantIbLb1EES13_EEDaSY_SZ_EUlSY_E_NS1_11comp_targetILNS1_3genE5ELNS1_11target_archE942ELNS1_3gpuE9ELNS1_3repE0EEENS1_30default_config_static_selectorELNS0_4arch9wavefront6targetE0EEEvT1_.has_recursion, 0
	.set _ZN7rocprim17ROCPRIM_400000_NS6detail17trampoline_kernelINS0_14default_configENS1_29reduce_by_key_config_selectorIifN6thrust23THRUST_200600_302600_NS4plusIfEEEEZZNS1_33reduce_by_key_impl_wrapped_configILNS1_25lookback_scan_determinismE0ES3_S9_NS6_6detail15normal_iteratorINS6_10device_ptrIiEEEENSD_INSE_IfEEEESG_SI_PmS8_NS6_8equal_toIiEEEE10hipError_tPvRmT2_T3_mT4_T5_T6_T7_T8_P12ihipStream_tbENKUlT_T0_E_clISt17integral_constantIbLb1EES13_EEDaSY_SZ_EUlSY_E_NS1_11comp_targetILNS1_3genE5ELNS1_11target_archE942ELNS1_3gpuE9ELNS1_3repE0EEENS1_30default_config_static_selectorELNS0_4arch9wavefront6targetE0EEEvT1_.has_indirect_call, 0
	.section	.AMDGPU.csdata,"",@progbits
; Kernel info:
; codeLenInByte = 0
; TotalNumSgprs: 0
; NumVgprs: 0
; ScratchSize: 0
; MemoryBound: 0
; FloatMode: 240
; IeeeMode: 1
; LDSByteSize: 0 bytes/workgroup (compile time only)
; SGPRBlocks: 0
; VGPRBlocks: 0
; NumSGPRsForWavesPerEU: 1
; NumVGPRsForWavesPerEU: 1
; Occupancy: 16
; WaveLimiterHint : 0
; COMPUTE_PGM_RSRC2:SCRATCH_EN: 0
; COMPUTE_PGM_RSRC2:USER_SGPR: 6
; COMPUTE_PGM_RSRC2:TRAP_HANDLER: 0
; COMPUTE_PGM_RSRC2:TGID_X_EN: 1
; COMPUTE_PGM_RSRC2:TGID_Y_EN: 0
; COMPUTE_PGM_RSRC2:TGID_Z_EN: 0
; COMPUTE_PGM_RSRC2:TIDIG_COMP_CNT: 0
	.section	.text._ZN7rocprim17ROCPRIM_400000_NS6detail17trampoline_kernelINS0_14default_configENS1_29reduce_by_key_config_selectorIifN6thrust23THRUST_200600_302600_NS4plusIfEEEEZZNS1_33reduce_by_key_impl_wrapped_configILNS1_25lookback_scan_determinismE0ES3_S9_NS6_6detail15normal_iteratorINS6_10device_ptrIiEEEENSD_INSE_IfEEEESG_SI_PmS8_NS6_8equal_toIiEEEE10hipError_tPvRmT2_T3_mT4_T5_T6_T7_T8_P12ihipStream_tbENKUlT_T0_E_clISt17integral_constantIbLb1EES13_EEDaSY_SZ_EUlSY_E_NS1_11comp_targetILNS1_3genE4ELNS1_11target_archE910ELNS1_3gpuE8ELNS1_3repE0EEENS1_30default_config_static_selectorELNS0_4arch9wavefront6targetE0EEEvT1_,"axG",@progbits,_ZN7rocprim17ROCPRIM_400000_NS6detail17trampoline_kernelINS0_14default_configENS1_29reduce_by_key_config_selectorIifN6thrust23THRUST_200600_302600_NS4plusIfEEEEZZNS1_33reduce_by_key_impl_wrapped_configILNS1_25lookback_scan_determinismE0ES3_S9_NS6_6detail15normal_iteratorINS6_10device_ptrIiEEEENSD_INSE_IfEEEESG_SI_PmS8_NS6_8equal_toIiEEEE10hipError_tPvRmT2_T3_mT4_T5_T6_T7_T8_P12ihipStream_tbENKUlT_T0_E_clISt17integral_constantIbLb1EES13_EEDaSY_SZ_EUlSY_E_NS1_11comp_targetILNS1_3genE4ELNS1_11target_archE910ELNS1_3gpuE8ELNS1_3repE0EEENS1_30default_config_static_selectorELNS0_4arch9wavefront6targetE0EEEvT1_,comdat
	.protected	_ZN7rocprim17ROCPRIM_400000_NS6detail17trampoline_kernelINS0_14default_configENS1_29reduce_by_key_config_selectorIifN6thrust23THRUST_200600_302600_NS4plusIfEEEEZZNS1_33reduce_by_key_impl_wrapped_configILNS1_25lookback_scan_determinismE0ES3_S9_NS6_6detail15normal_iteratorINS6_10device_ptrIiEEEENSD_INSE_IfEEEESG_SI_PmS8_NS6_8equal_toIiEEEE10hipError_tPvRmT2_T3_mT4_T5_T6_T7_T8_P12ihipStream_tbENKUlT_T0_E_clISt17integral_constantIbLb1EES13_EEDaSY_SZ_EUlSY_E_NS1_11comp_targetILNS1_3genE4ELNS1_11target_archE910ELNS1_3gpuE8ELNS1_3repE0EEENS1_30default_config_static_selectorELNS0_4arch9wavefront6targetE0EEEvT1_ ; -- Begin function _ZN7rocprim17ROCPRIM_400000_NS6detail17trampoline_kernelINS0_14default_configENS1_29reduce_by_key_config_selectorIifN6thrust23THRUST_200600_302600_NS4plusIfEEEEZZNS1_33reduce_by_key_impl_wrapped_configILNS1_25lookback_scan_determinismE0ES3_S9_NS6_6detail15normal_iteratorINS6_10device_ptrIiEEEENSD_INSE_IfEEEESG_SI_PmS8_NS6_8equal_toIiEEEE10hipError_tPvRmT2_T3_mT4_T5_T6_T7_T8_P12ihipStream_tbENKUlT_T0_E_clISt17integral_constantIbLb1EES13_EEDaSY_SZ_EUlSY_E_NS1_11comp_targetILNS1_3genE4ELNS1_11target_archE910ELNS1_3gpuE8ELNS1_3repE0EEENS1_30default_config_static_selectorELNS0_4arch9wavefront6targetE0EEEvT1_
	.globl	_ZN7rocprim17ROCPRIM_400000_NS6detail17trampoline_kernelINS0_14default_configENS1_29reduce_by_key_config_selectorIifN6thrust23THRUST_200600_302600_NS4plusIfEEEEZZNS1_33reduce_by_key_impl_wrapped_configILNS1_25lookback_scan_determinismE0ES3_S9_NS6_6detail15normal_iteratorINS6_10device_ptrIiEEEENSD_INSE_IfEEEESG_SI_PmS8_NS6_8equal_toIiEEEE10hipError_tPvRmT2_T3_mT4_T5_T6_T7_T8_P12ihipStream_tbENKUlT_T0_E_clISt17integral_constantIbLb1EES13_EEDaSY_SZ_EUlSY_E_NS1_11comp_targetILNS1_3genE4ELNS1_11target_archE910ELNS1_3gpuE8ELNS1_3repE0EEENS1_30default_config_static_selectorELNS0_4arch9wavefront6targetE0EEEvT1_
	.p2align	8
	.type	_ZN7rocprim17ROCPRIM_400000_NS6detail17trampoline_kernelINS0_14default_configENS1_29reduce_by_key_config_selectorIifN6thrust23THRUST_200600_302600_NS4plusIfEEEEZZNS1_33reduce_by_key_impl_wrapped_configILNS1_25lookback_scan_determinismE0ES3_S9_NS6_6detail15normal_iteratorINS6_10device_ptrIiEEEENSD_INSE_IfEEEESG_SI_PmS8_NS6_8equal_toIiEEEE10hipError_tPvRmT2_T3_mT4_T5_T6_T7_T8_P12ihipStream_tbENKUlT_T0_E_clISt17integral_constantIbLb1EES13_EEDaSY_SZ_EUlSY_E_NS1_11comp_targetILNS1_3genE4ELNS1_11target_archE910ELNS1_3gpuE8ELNS1_3repE0EEENS1_30default_config_static_selectorELNS0_4arch9wavefront6targetE0EEEvT1_,@function
_ZN7rocprim17ROCPRIM_400000_NS6detail17trampoline_kernelINS0_14default_configENS1_29reduce_by_key_config_selectorIifN6thrust23THRUST_200600_302600_NS4plusIfEEEEZZNS1_33reduce_by_key_impl_wrapped_configILNS1_25lookback_scan_determinismE0ES3_S9_NS6_6detail15normal_iteratorINS6_10device_ptrIiEEEENSD_INSE_IfEEEESG_SI_PmS8_NS6_8equal_toIiEEEE10hipError_tPvRmT2_T3_mT4_T5_T6_T7_T8_P12ihipStream_tbENKUlT_T0_E_clISt17integral_constantIbLb1EES13_EEDaSY_SZ_EUlSY_E_NS1_11comp_targetILNS1_3genE4ELNS1_11target_archE910ELNS1_3gpuE8ELNS1_3repE0EEENS1_30default_config_static_selectorELNS0_4arch9wavefront6targetE0EEEvT1_: ; @_ZN7rocprim17ROCPRIM_400000_NS6detail17trampoline_kernelINS0_14default_configENS1_29reduce_by_key_config_selectorIifN6thrust23THRUST_200600_302600_NS4plusIfEEEEZZNS1_33reduce_by_key_impl_wrapped_configILNS1_25lookback_scan_determinismE0ES3_S9_NS6_6detail15normal_iteratorINS6_10device_ptrIiEEEENSD_INSE_IfEEEESG_SI_PmS8_NS6_8equal_toIiEEEE10hipError_tPvRmT2_T3_mT4_T5_T6_T7_T8_P12ihipStream_tbENKUlT_T0_E_clISt17integral_constantIbLb1EES13_EEDaSY_SZ_EUlSY_E_NS1_11comp_targetILNS1_3genE4ELNS1_11target_archE910ELNS1_3gpuE8ELNS1_3repE0EEENS1_30default_config_static_selectorELNS0_4arch9wavefront6targetE0EEEvT1_
; %bb.0:
	.section	.rodata,"a",@progbits
	.p2align	6, 0x0
	.amdhsa_kernel _ZN7rocprim17ROCPRIM_400000_NS6detail17trampoline_kernelINS0_14default_configENS1_29reduce_by_key_config_selectorIifN6thrust23THRUST_200600_302600_NS4plusIfEEEEZZNS1_33reduce_by_key_impl_wrapped_configILNS1_25lookback_scan_determinismE0ES3_S9_NS6_6detail15normal_iteratorINS6_10device_ptrIiEEEENSD_INSE_IfEEEESG_SI_PmS8_NS6_8equal_toIiEEEE10hipError_tPvRmT2_T3_mT4_T5_T6_T7_T8_P12ihipStream_tbENKUlT_T0_E_clISt17integral_constantIbLb1EES13_EEDaSY_SZ_EUlSY_E_NS1_11comp_targetILNS1_3genE4ELNS1_11target_archE910ELNS1_3gpuE8ELNS1_3repE0EEENS1_30default_config_static_selectorELNS0_4arch9wavefront6targetE0EEEvT1_
		.amdhsa_group_segment_fixed_size 0
		.amdhsa_private_segment_fixed_size 0
		.amdhsa_kernarg_size 120
		.amdhsa_user_sgpr_count 6
		.amdhsa_user_sgpr_private_segment_buffer 1
		.amdhsa_user_sgpr_dispatch_ptr 0
		.amdhsa_user_sgpr_queue_ptr 0
		.amdhsa_user_sgpr_kernarg_segment_ptr 1
		.amdhsa_user_sgpr_dispatch_id 0
		.amdhsa_user_sgpr_flat_scratch_init 0
		.amdhsa_user_sgpr_private_segment_size 0
		.amdhsa_wavefront_size32 1
		.amdhsa_uses_dynamic_stack 0
		.amdhsa_system_sgpr_private_segment_wavefront_offset 0
		.amdhsa_system_sgpr_workgroup_id_x 1
		.amdhsa_system_sgpr_workgroup_id_y 0
		.amdhsa_system_sgpr_workgroup_id_z 0
		.amdhsa_system_sgpr_workgroup_info 0
		.amdhsa_system_vgpr_workitem_id 0
		.amdhsa_next_free_vgpr 1
		.amdhsa_next_free_sgpr 1
		.amdhsa_reserve_vcc 0
		.amdhsa_reserve_flat_scratch 0
		.amdhsa_float_round_mode_32 0
		.amdhsa_float_round_mode_16_64 0
		.amdhsa_float_denorm_mode_32 3
		.amdhsa_float_denorm_mode_16_64 3
		.amdhsa_dx10_clamp 1
		.amdhsa_ieee_mode 1
		.amdhsa_fp16_overflow 0
		.amdhsa_workgroup_processor_mode 1
		.amdhsa_memory_ordered 1
		.amdhsa_forward_progress 1
		.amdhsa_shared_vgpr_count 0
		.amdhsa_exception_fp_ieee_invalid_op 0
		.amdhsa_exception_fp_denorm_src 0
		.amdhsa_exception_fp_ieee_div_zero 0
		.amdhsa_exception_fp_ieee_overflow 0
		.amdhsa_exception_fp_ieee_underflow 0
		.amdhsa_exception_fp_ieee_inexact 0
		.amdhsa_exception_int_div_zero 0
	.end_amdhsa_kernel
	.section	.text._ZN7rocprim17ROCPRIM_400000_NS6detail17trampoline_kernelINS0_14default_configENS1_29reduce_by_key_config_selectorIifN6thrust23THRUST_200600_302600_NS4plusIfEEEEZZNS1_33reduce_by_key_impl_wrapped_configILNS1_25lookback_scan_determinismE0ES3_S9_NS6_6detail15normal_iteratorINS6_10device_ptrIiEEEENSD_INSE_IfEEEESG_SI_PmS8_NS6_8equal_toIiEEEE10hipError_tPvRmT2_T3_mT4_T5_T6_T7_T8_P12ihipStream_tbENKUlT_T0_E_clISt17integral_constantIbLb1EES13_EEDaSY_SZ_EUlSY_E_NS1_11comp_targetILNS1_3genE4ELNS1_11target_archE910ELNS1_3gpuE8ELNS1_3repE0EEENS1_30default_config_static_selectorELNS0_4arch9wavefront6targetE0EEEvT1_,"axG",@progbits,_ZN7rocprim17ROCPRIM_400000_NS6detail17trampoline_kernelINS0_14default_configENS1_29reduce_by_key_config_selectorIifN6thrust23THRUST_200600_302600_NS4plusIfEEEEZZNS1_33reduce_by_key_impl_wrapped_configILNS1_25lookback_scan_determinismE0ES3_S9_NS6_6detail15normal_iteratorINS6_10device_ptrIiEEEENSD_INSE_IfEEEESG_SI_PmS8_NS6_8equal_toIiEEEE10hipError_tPvRmT2_T3_mT4_T5_T6_T7_T8_P12ihipStream_tbENKUlT_T0_E_clISt17integral_constantIbLb1EES13_EEDaSY_SZ_EUlSY_E_NS1_11comp_targetILNS1_3genE4ELNS1_11target_archE910ELNS1_3gpuE8ELNS1_3repE0EEENS1_30default_config_static_selectorELNS0_4arch9wavefront6targetE0EEEvT1_,comdat
.Lfunc_end78:
	.size	_ZN7rocprim17ROCPRIM_400000_NS6detail17trampoline_kernelINS0_14default_configENS1_29reduce_by_key_config_selectorIifN6thrust23THRUST_200600_302600_NS4plusIfEEEEZZNS1_33reduce_by_key_impl_wrapped_configILNS1_25lookback_scan_determinismE0ES3_S9_NS6_6detail15normal_iteratorINS6_10device_ptrIiEEEENSD_INSE_IfEEEESG_SI_PmS8_NS6_8equal_toIiEEEE10hipError_tPvRmT2_T3_mT4_T5_T6_T7_T8_P12ihipStream_tbENKUlT_T0_E_clISt17integral_constantIbLb1EES13_EEDaSY_SZ_EUlSY_E_NS1_11comp_targetILNS1_3genE4ELNS1_11target_archE910ELNS1_3gpuE8ELNS1_3repE0EEENS1_30default_config_static_selectorELNS0_4arch9wavefront6targetE0EEEvT1_, .Lfunc_end78-_ZN7rocprim17ROCPRIM_400000_NS6detail17trampoline_kernelINS0_14default_configENS1_29reduce_by_key_config_selectorIifN6thrust23THRUST_200600_302600_NS4plusIfEEEEZZNS1_33reduce_by_key_impl_wrapped_configILNS1_25lookback_scan_determinismE0ES3_S9_NS6_6detail15normal_iteratorINS6_10device_ptrIiEEEENSD_INSE_IfEEEESG_SI_PmS8_NS6_8equal_toIiEEEE10hipError_tPvRmT2_T3_mT4_T5_T6_T7_T8_P12ihipStream_tbENKUlT_T0_E_clISt17integral_constantIbLb1EES13_EEDaSY_SZ_EUlSY_E_NS1_11comp_targetILNS1_3genE4ELNS1_11target_archE910ELNS1_3gpuE8ELNS1_3repE0EEENS1_30default_config_static_selectorELNS0_4arch9wavefront6targetE0EEEvT1_
                                        ; -- End function
	.set _ZN7rocprim17ROCPRIM_400000_NS6detail17trampoline_kernelINS0_14default_configENS1_29reduce_by_key_config_selectorIifN6thrust23THRUST_200600_302600_NS4plusIfEEEEZZNS1_33reduce_by_key_impl_wrapped_configILNS1_25lookback_scan_determinismE0ES3_S9_NS6_6detail15normal_iteratorINS6_10device_ptrIiEEEENSD_INSE_IfEEEESG_SI_PmS8_NS6_8equal_toIiEEEE10hipError_tPvRmT2_T3_mT4_T5_T6_T7_T8_P12ihipStream_tbENKUlT_T0_E_clISt17integral_constantIbLb1EES13_EEDaSY_SZ_EUlSY_E_NS1_11comp_targetILNS1_3genE4ELNS1_11target_archE910ELNS1_3gpuE8ELNS1_3repE0EEENS1_30default_config_static_selectorELNS0_4arch9wavefront6targetE0EEEvT1_.num_vgpr, 0
	.set _ZN7rocprim17ROCPRIM_400000_NS6detail17trampoline_kernelINS0_14default_configENS1_29reduce_by_key_config_selectorIifN6thrust23THRUST_200600_302600_NS4plusIfEEEEZZNS1_33reduce_by_key_impl_wrapped_configILNS1_25lookback_scan_determinismE0ES3_S9_NS6_6detail15normal_iteratorINS6_10device_ptrIiEEEENSD_INSE_IfEEEESG_SI_PmS8_NS6_8equal_toIiEEEE10hipError_tPvRmT2_T3_mT4_T5_T6_T7_T8_P12ihipStream_tbENKUlT_T0_E_clISt17integral_constantIbLb1EES13_EEDaSY_SZ_EUlSY_E_NS1_11comp_targetILNS1_3genE4ELNS1_11target_archE910ELNS1_3gpuE8ELNS1_3repE0EEENS1_30default_config_static_selectorELNS0_4arch9wavefront6targetE0EEEvT1_.num_agpr, 0
	.set _ZN7rocprim17ROCPRIM_400000_NS6detail17trampoline_kernelINS0_14default_configENS1_29reduce_by_key_config_selectorIifN6thrust23THRUST_200600_302600_NS4plusIfEEEEZZNS1_33reduce_by_key_impl_wrapped_configILNS1_25lookback_scan_determinismE0ES3_S9_NS6_6detail15normal_iteratorINS6_10device_ptrIiEEEENSD_INSE_IfEEEESG_SI_PmS8_NS6_8equal_toIiEEEE10hipError_tPvRmT2_T3_mT4_T5_T6_T7_T8_P12ihipStream_tbENKUlT_T0_E_clISt17integral_constantIbLb1EES13_EEDaSY_SZ_EUlSY_E_NS1_11comp_targetILNS1_3genE4ELNS1_11target_archE910ELNS1_3gpuE8ELNS1_3repE0EEENS1_30default_config_static_selectorELNS0_4arch9wavefront6targetE0EEEvT1_.numbered_sgpr, 0
	.set _ZN7rocprim17ROCPRIM_400000_NS6detail17trampoline_kernelINS0_14default_configENS1_29reduce_by_key_config_selectorIifN6thrust23THRUST_200600_302600_NS4plusIfEEEEZZNS1_33reduce_by_key_impl_wrapped_configILNS1_25lookback_scan_determinismE0ES3_S9_NS6_6detail15normal_iteratorINS6_10device_ptrIiEEEENSD_INSE_IfEEEESG_SI_PmS8_NS6_8equal_toIiEEEE10hipError_tPvRmT2_T3_mT4_T5_T6_T7_T8_P12ihipStream_tbENKUlT_T0_E_clISt17integral_constantIbLb1EES13_EEDaSY_SZ_EUlSY_E_NS1_11comp_targetILNS1_3genE4ELNS1_11target_archE910ELNS1_3gpuE8ELNS1_3repE0EEENS1_30default_config_static_selectorELNS0_4arch9wavefront6targetE0EEEvT1_.num_named_barrier, 0
	.set _ZN7rocprim17ROCPRIM_400000_NS6detail17trampoline_kernelINS0_14default_configENS1_29reduce_by_key_config_selectorIifN6thrust23THRUST_200600_302600_NS4plusIfEEEEZZNS1_33reduce_by_key_impl_wrapped_configILNS1_25lookback_scan_determinismE0ES3_S9_NS6_6detail15normal_iteratorINS6_10device_ptrIiEEEENSD_INSE_IfEEEESG_SI_PmS8_NS6_8equal_toIiEEEE10hipError_tPvRmT2_T3_mT4_T5_T6_T7_T8_P12ihipStream_tbENKUlT_T0_E_clISt17integral_constantIbLb1EES13_EEDaSY_SZ_EUlSY_E_NS1_11comp_targetILNS1_3genE4ELNS1_11target_archE910ELNS1_3gpuE8ELNS1_3repE0EEENS1_30default_config_static_selectorELNS0_4arch9wavefront6targetE0EEEvT1_.private_seg_size, 0
	.set _ZN7rocprim17ROCPRIM_400000_NS6detail17trampoline_kernelINS0_14default_configENS1_29reduce_by_key_config_selectorIifN6thrust23THRUST_200600_302600_NS4plusIfEEEEZZNS1_33reduce_by_key_impl_wrapped_configILNS1_25lookback_scan_determinismE0ES3_S9_NS6_6detail15normal_iteratorINS6_10device_ptrIiEEEENSD_INSE_IfEEEESG_SI_PmS8_NS6_8equal_toIiEEEE10hipError_tPvRmT2_T3_mT4_T5_T6_T7_T8_P12ihipStream_tbENKUlT_T0_E_clISt17integral_constantIbLb1EES13_EEDaSY_SZ_EUlSY_E_NS1_11comp_targetILNS1_3genE4ELNS1_11target_archE910ELNS1_3gpuE8ELNS1_3repE0EEENS1_30default_config_static_selectorELNS0_4arch9wavefront6targetE0EEEvT1_.uses_vcc, 0
	.set _ZN7rocprim17ROCPRIM_400000_NS6detail17trampoline_kernelINS0_14default_configENS1_29reduce_by_key_config_selectorIifN6thrust23THRUST_200600_302600_NS4plusIfEEEEZZNS1_33reduce_by_key_impl_wrapped_configILNS1_25lookback_scan_determinismE0ES3_S9_NS6_6detail15normal_iteratorINS6_10device_ptrIiEEEENSD_INSE_IfEEEESG_SI_PmS8_NS6_8equal_toIiEEEE10hipError_tPvRmT2_T3_mT4_T5_T6_T7_T8_P12ihipStream_tbENKUlT_T0_E_clISt17integral_constantIbLb1EES13_EEDaSY_SZ_EUlSY_E_NS1_11comp_targetILNS1_3genE4ELNS1_11target_archE910ELNS1_3gpuE8ELNS1_3repE0EEENS1_30default_config_static_selectorELNS0_4arch9wavefront6targetE0EEEvT1_.uses_flat_scratch, 0
	.set _ZN7rocprim17ROCPRIM_400000_NS6detail17trampoline_kernelINS0_14default_configENS1_29reduce_by_key_config_selectorIifN6thrust23THRUST_200600_302600_NS4plusIfEEEEZZNS1_33reduce_by_key_impl_wrapped_configILNS1_25lookback_scan_determinismE0ES3_S9_NS6_6detail15normal_iteratorINS6_10device_ptrIiEEEENSD_INSE_IfEEEESG_SI_PmS8_NS6_8equal_toIiEEEE10hipError_tPvRmT2_T3_mT4_T5_T6_T7_T8_P12ihipStream_tbENKUlT_T0_E_clISt17integral_constantIbLb1EES13_EEDaSY_SZ_EUlSY_E_NS1_11comp_targetILNS1_3genE4ELNS1_11target_archE910ELNS1_3gpuE8ELNS1_3repE0EEENS1_30default_config_static_selectorELNS0_4arch9wavefront6targetE0EEEvT1_.has_dyn_sized_stack, 0
	.set _ZN7rocprim17ROCPRIM_400000_NS6detail17trampoline_kernelINS0_14default_configENS1_29reduce_by_key_config_selectorIifN6thrust23THRUST_200600_302600_NS4plusIfEEEEZZNS1_33reduce_by_key_impl_wrapped_configILNS1_25lookback_scan_determinismE0ES3_S9_NS6_6detail15normal_iteratorINS6_10device_ptrIiEEEENSD_INSE_IfEEEESG_SI_PmS8_NS6_8equal_toIiEEEE10hipError_tPvRmT2_T3_mT4_T5_T6_T7_T8_P12ihipStream_tbENKUlT_T0_E_clISt17integral_constantIbLb1EES13_EEDaSY_SZ_EUlSY_E_NS1_11comp_targetILNS1_3genE4ELNS1_11target_archE910ELNS1_3gpuE8ELNS1_3repE0EEENS1_30default_config_static_selectorELNS0_4arch9wavefront6targetE0EEEvT1_.has_recursion, 0
	.set _ZN7rocprim17ROCPRIM_400000_NS6detail17trampoline_kernelINS0_14default_configENS1_29reduce_by_key_config_selectorIifN6thrust23THRUST_200600_302600_NS4plusIfEEEEZZNS1_33reduce_by_key_impl_wrapped_configILNS1_25lookback_scan_determinismE0ES3_S9_NS6_6detail15normal_iteratorINS6_10device_ptrIiEEEENSD_INSE_IfEEEESG_SI_PmS8_NS6_8equal_toIiEEEE10hipError_tPvRmT2_T3_mT4_T5_T6_T7_T8_P12ihipStream_tbENKUlT_T0_E_clISt17integral_constantIbLb1EES13_EEDaSY_SZ_EUlSY_E_NS1_11comp_targetILNS1_3genE4ELNS1_11target_archE910ELNS1_3gpuE8ELNS1_3repE0EEENS1_30default_config_static_selectorELNS0_4arch9wavefront6targetE0EEEvT1_.has_indirect_call, 0
	.section	.AMDGPU.csdata,"",@progbits
; Kernel info:
; codeLenInByte = 0
; TotalNumSgprs: 0
; NumVgprs: 0
; ScratchSize: 0
; MemoryBound: 0
; FloatMode: 240
; IeeeMode: 1
; LDSByteSize: 0 bytes/workgroup (compile time only)
; SGPRBlocks: 0
; VGPRBlocks: 0
; NumSGPRsForWavesPerEU: 1
; NumVGPRsForWavesPerEU: 1
; Occupancy: 16
; WaveLimiterHint : 0
; COMPUTE_PGM_RSRC2:SCRATCH_EN: 0
; COMPUTE_PGM_RSRC2:USER_SGPR: 6
; COMPUTE_PGM_RSRC2:TRAP_HANDLER: 0
; COMPUTE_PGM_RSRC2:TGID_X_EN: 1
; COMPUTE_PGM_RSRC2:TGID_Y_EN: 0
; COMPUTE_PGM_RSRC2:TGID_Z_EN: 0
; COMPUTE_PGM_RSRC2:TIDIG_COMP_CNT: 0
	.section	.text._ZN7rocprim17ROCPRIM_400000_NS6detail17trampoline_kernelINS0_14default_configENS1_29reduce_by_key_config_selectorIifN6thrust23THRUST_200600_302600_NS4plusIfEEEEZZNS1_33reduce_by_key_impl_wrapped_configILNS1_25lookback_scan_determinismE0ES3_S9_NS6_6detail15normal_iteratorINS6_10device_ptrIiEEEENSD_INSE_IfEEEESG_SI_PmS8_NS6_8equal_toIiEEEE10hipError_tPvRmT2_T3_mT4_T5_T6_T7_T8_P12ihipStream_tbENKUlT_T0_E_clISt17integral_constantIbLb1EES13_EEDaSY_SZ_EUlSY_E_NS1_11comp_targetILNS1_3genE3ELNS1_11target_archE908ELNS1_3gpuE7ELNS1_3repE0EEENS1_30default_config_static_selectorELNS0_4arch9wavefront6targetE0EEEvT1_,"axG",@progbits,_ZN7rocprim17ROCPRIM_400000_NS6detail17trampoline_kernelINS0_14default_configENS1_29reduce_by_key_config_selectorIifN6thrust23THRUST_200600_302600_NS4plusIfEEEEZZNS1_33reduce_by_key_impl_wrapped_configILNS1_25lookback_scan_determinismE0ES3_S9_NS6_6detail15normal_iteratorINS6_10device_ptrIiEEEENSD_INSE_IfEEEESG_SI_PmS8_NS6_8equal_toIiEEEE10hipError_tPvRmT2_T3_mT4_T5_T6_T7_T8_P12ihipStream_tbENKUlT_T0_E_clISt17integral_constantIbLb1EES13_EEDaSY_SZ_EUlSY_E_NS1_11comp_targetILNS1_3genE3ELNS1_11target_archE908ELNS1_3gpuE7ELNS1_3repE0EEENS1_30default_config_static_selectorELNS0_4arch9wavefront6targetE0EEEvT1_,comdat
	.protected	_ZN7rocprim17ROCPRIM_400000_NS6detail17trampoline_kernelINS0_14default_configENS1_29reduce_by_key_config_selectorIifN6thrust23THRUST_200600_302600_NS4plusIfEEEEZZNS1_33reduce_by_key_impl_wrapped_configILNS1_25lookback_scan_determinismE0ES3_S9_NS6_6detail15normal_iteratorINS6_10device_ptrIiEEEENSD_INSE_IfEEEESG_SI_PmS8_NS6_8equal_toIiEEEE10hipError_tPvRmT2_T3_mT4_T5_T6_T7_T8_P12ihipStream_tbENKUlT_T0_E_clISt17integral_constantIbLb1EES13_EEDaSY_SZ_EUlSY_E_NS1_11comp_targetILNS1_3genE3ELNS1_11target_archE908ELNS1_3gpuE7ELNS1_3repE0EEENS1_30default_config_static_selectorELNS0_4arch9wavefront6targetE0EEEvT1_ ; -- Begin function _ZN7rocprim17ROCPRIM_400000_NS6detail17trampoline_kernelINS0_14default_configENS1_29reduce_by_key_config_selectorIifN6thrust23THRUST_200600_302600_NS4plusIfEEEEZZNS1_33reduce_by_key_impl_wrapped_configILNS1_25lookback_scan_determinismE0ES3_S9_NS6_6detail15normal_iteratorINS6_10device_ptrIiEEEENSD_INSE_IfEEEESG_SI_PmS8_NS6_8equal_toIiEEEE10hipError_tPvRmT2_T3_mT4_T5_T6_T7_T8_P12ihipStream_tbENKUlT_T0_E_clISt17integral_constantIbLb1EES13_EEDaSY_SZ_EUlSY_E_NS1_11comp_targetILNS1_3genE3ELNS1_11target_archE908ELNS1_3gpuE7ELNS1_3repE0EEENS1_30default_config_static_selectorELNS0_4arch9wavefront6targetE0EEEvT1_
	.globl	_ZN7rocprim17ROCPRIM_400000_NS6detail17trampoline_kernelINS0_14default_configENS1_29reduce_by_key_config_selectorIifN6thrust23THRUST_200600_302600_NS4plusIfEEEEZZNS1_33reduce_by_key_impl_wrapped_configILNS1_25lookback_scan_determinismE0ES3_S9_NS6_6detail15normal_iteratorINS6_10device_ptrIiEEEENSD_INSE_IfEEEESG_SI_PmS8_NS6_8equal_toIiEEEE10hipError_tPvRmT2_T3_mT4_T5_T6_T7_T8_P12ihipStream_tbENKUlT_T0_E_clISt17integral_constantIbLb1EES13_EEDaSY_SZ_EUlSY_E_NS1_11comp_targetILNS1_3genE3ELNS1_11target_archE908ELNS1_3gpuE7ELNS1_3repE0EEENS1_30default_config_static_selectorELNS0_4arch9wavefront6targetE0EEEvT1_
	.p2align	8
	.type	_ZN7rocprim17ROCPRIM_400000_NS6detail17trampoline_kernelINS0_14default_configENS1_29reduce_by_key_config_selectorIifN6thrust23THRUST_200600_302600_NS4plusIfEEEEZZNS1_33reduce_by_key_impl_wrapped_configILNS1_25lookback_scan_determinismE0ES3_S9_NS6_6detail15normal_iteratorINS6_10device_ptrIiEEEENSD_INSE_IfEEEESG_SI_PmS8_NS6_8equal_toIiEEEE10hipError_tPvRmT2_T3_mT4_T5_T6_T7_T8_P12ihipStream_tbENKUlT_T0_E_clISt17integral_constantIbLb1EES13_EEDaSY_SZ_EUlSY_E_NS1_11comp_targetILNS1_3genE3ELNS1_11target_archE908ELNS1_3gpuE7ELNS1_3repE0EEENS1_30default_config_static_selectorELNS0_4arch9wavefront6targetE0EEEvT1_,@function
_ZN7rocprim17ROCPRIM_400000_NS6detail17trampoline_kernelINS0_14default_configENS1_29reduce_by_key_config_selectorIifN6thrust23THRUST_200600_302600_NS4plusIfEEEEZZNS1_33reduce_by_key_impl_wrapped_configILNS1_25lookback_scan_determinismE0ES3_S9_NS6_6detail15normal_iteratorINS6_10device_ptrIiEEEENSD_INSE_IfEEEESG_SI_PmS8_NS6_8equal_toIiEEEE10hipError_tPvRmT2_T3_mT4_T5_T6_T7_T8_P12ihipStream_tbENKUlT_T0_E_clISt17integral_constantIbLb1EES13_EEDaSY_SZ_EUlSY_E_NS1_11comp_targetILNS1_3genE3ELNS1_11target_archE908ELNS1_3gpuE7ELNS1_3repE0EEENS1_30default_config_static_selectorELNS0_4arch9wavefront6targetE0EEEvT1_: ; @_ZN7rocprim17ROCPRIM_400000_NS6detail17trampoline_kernelINS0_14default_configENS1_29reduce_by_key_config_selectorIifN6thrust23THRUST_200600_302600_NS4plusIfEEEEZZNS1_33reduce_by_key_impl_wrapped_configILNS1_25lookback_scan_determinismE0ES3_S9_NS6_6detail15normal_iteratorINS6_10device_ptrIiEEEENSD_INSE_IfEEEESG_SI_PmS8_NS6_8equal_toIiEEEE10hipError_tPvRmT2_T3_mT4_T5_T6_T7_T8_P12ihipStream_tbENKUlT_T0_E_clISt17integral_constantIbLb1EES13_EEDaSY_SZ_EUlSY_E_NS1_11comp_targetILNS1_3genE3ELNS1_11target_archE908ELNS1_3gpuE7ELNS1_3repE0EEENS1_30default_config_static_selectorELNS0_4arch9wavefront6targetE0EEEvT1_
; %bb.0:
	.section	.rodata,"a",@progbits
	.p2align	6, 0x0
	.amdhsa_kernel _ZN7rocprim17ROCPRIM_400000_NS6detail17trampoline_kernelINS0_14default_configENS1_29reduce_by_key_config_selectorIifN6thrust23THRUST_200600_302600_NS4plusIfEEEEZZNS1_33reduce_by_key_impl_wrapped_configILNS1_25lookback_scan_determinismE0ES3_S9_NS6_6detail15normal_iteratorINS6_10device_ptrIiEEEENSD_INSE_IfEEEESG_SI_PmS8_NS6_8equal_toIiEEEE10hipError_tPvRmT2_T3_mT4_T5_T6_T7_T8_P12ihipStream_tbENKUlT_T0_E_clISt17integral_constantIbLb1EES13_EEDaSY_SZ_EUlSY_E_NS1_11comp_targetILNS1_3genE3ELNS1_11target_archE908ELNS1_3gpuE7ELNS1_3repE0EEENS1_30default_config_static_selectorELNS0_4arch9wavefront6targetE0EEEvT1_
		.amdhsa_group_segment_fixed_size 0
		.amdhsa_private_segment_fixed_size 0
		.amdhsa_kernarg_size 120
		.amdhsa_user_sgpr_count 6
		.amdhsa_user_sgpr_private_segment_buffer 1
		.amdhsa_user_sgpr_dispatch_ptr 0
		.amdhsa_user_sgpr_queue_ptr 0
		.amdhsa_user_sgpr_kernarg_segment_ptr 1
		.amdhsa_user_sgpr_dispatch_id 0
		.amdhsa_user_sgpr_flat_scratch_init 0
		.amdhsa_user_sgpr_private_segment_size 0
		.amdhsa_wavefront_size32 1
		.amdhsa_uses_dynamic_stack 0
		.amdhsa_system_sgpr_private_segment_wavefront_offset 0
		.amdhsa_system_sgpr_workgroup_id_x 1
		.amdhsa_system_sgpr_workgroup_id_y 0
		.amdhsa_system_sgpr_workgroup_id_z 0
		.amdhsa_system_sgpr_workgroup_info 0
		.amdhsa_system_vgpr_workitem_id 0
		.amdhsa_next_free_vgpr 1
		.amdhsa_next_free_sgpr 1
		.amdhsa_reserve_vcc 0
		.amdhsa_reserve_flat_scratch 0
		.amdhsa_float_round_mode_32 0
		.amdhsa_float_round_mode_16_64 0
		.amdhsa_float_denorm_mode_32 3
		.amdhsa_float_denorm_mode_16_64 3
		.amdhsa_dx10_clamp 1
		.amdhsa_ieee_mode 1
		.amdhsa_fp16_overflow 0
		.amdhsa_workgroup_processor_mode 1
		.amdhsa_memory_ordered 1
		.amdhsa_forward_progress 1
		.amdhsa_shared_vgpr_count 0
		.amdhsa_exception_fp_ieee_invalid_op 0
		.amdhsa_exception_fp_denorm_src 0
		.amdhsa_exception_fp_ieee_div_zero 0
		.amdhsa_exception_fp_ieee_overflow 0
		.amdhsa_exception_fp_ieee_underflow 0
		.amdhsa_exception_fp_ieee_inexact 0
		.amdhsa_exception_int_div_zero 0
	.end_amdhsa_kernel
	.section	.text._ZN7rocprim17ROCPRIM_400000_NS6detail17trampoline_kernelINS0_14default_configENS1_29reduce_by_key_config_selectorIifN6thrust23THRUST_200600_302600_NS4plusIfEEEEZZNS1_33reduce_by_key_impl_wrapped_configILNS1_25lookback_scan_determinismE0ES3_S9_NS6_6detail15normal_iteratorINS6_10device_ptrIiEEEENSD_INSE_IfEEEESG_SI_PmS8_NS6_8equal_toIiEEEE10hipError_tPvRmT2_T3_mT4_T5_T6_T7_T8_P12ihipStream_tbENKUlT_T0_E_clISt17integral_constantIbLb1EES13_EEDaSY_SZ_EUlSY_E_NS1_11comp_targetILNS1_3genE3ELNS1_11target_archE908ELNS1_3gpuE7ELNS1_3repE0EEENS1_30default_config_static_selectorELNS0_4arch9wavefront6targetE0EEEvT1_,"axG",@progbits,_ZN7rocprim17ROCPRIM_400000_NS6detail17trampoline_kernelINS0_14default_configENS1_29reduce_by_key_config_selectorIifN6thrust23THRUST_200600_302600_NS4plusIfEEEEZZNS1_33reduce_by_key_impl_wrapped_configILNS1_25lookback_scan_determinismE0ES3_S9_NS6_6detail15normal_iteratorINS6_10device_ptrIiEEEENSD_INSE_IfEEEESG_SI_PmS8_NS6_8equal_toIiEEEE10hipError_tPvRmT2_T3_mT4_T5_T6_T7_T8_P12ihipStream_tbENKUlT_T0_E_clISt17integral_constantIbLb1EES13_EEDaSY_SZ_EUlSY_E_NS1_11comp_targetILNS1_3genE3ELNS1_11target_archE908ELNS1_3gpuE7ELNS1_3repE0EEENS1_30default_config_static_selectorELNS0_4arch9wavefront6targetE0EEEvT1_,comdat
.Lfunc_end79:
	.size	_ZN7rocprim17ROCPRIM_400000_NS6detail17trampoline_kernelINS0_14default_configENS1_29reduce_by_key_config_selectorIifN6thrust23THRUST_200600_302600_NS4plusIfEEEEZZNS1_33reduce_by_key_impl_wrapped_configILNS1_25lookback_scan_determinismE0ES3_S9_NS6_6detail15normal_iteratorINS6_10device_ptrIiEEEENSD_INSE_IfEEEESG_SI_PmS8_NS6_8equal_toIiEEEE10hipError_tPvRmT2_T3_mT4_T5_T6_T7_T8_P12ihipStream_tbENKUlT_T0_E_clISt17integral_constantIbLb1EES13_EEDaSY_SZ_EUlSY_E_NS1_11comp_targetILNS1_3genE3ELNS1_11target_archE908ELNS1_3gpuE7ELNS1_3repE0EEENS1_30default_config_static_selectorELNS0_4arch9wavefront6targetE0EEEvT1_, .Lfunc_end79-_ZN7rocprim17ROCPRIM_400000_NS6detail17trampoline_kernelINS0_14default_configENS1_29reduce_by_key_config_selectorIifN6thrust23THRUST_200600_302600_NS4plusIfEEEEZZNS1_33reduce_by_key_impl_wrapped_configILNS1_25lookback_scan_determinismE0ES3_S9_NS6_6detail15normal_iteratorINS6_10device_ptrIiEEEENSD_INSE_IfEEEESG_SI_PmS8_NS6_8equal_toIiEEEE10hipError_tPvRmT2_T3_mT4_T5_T6_T7_T8_P12ihipStream_tbENKUlT_T0_E_clISt17integral_constantIbLb1EES13_EEDaSY_SZ_EUlSY_E_NS1_11comp_targetILNS1_3genE3ELNS1_11target_archE908ELNS1_3gpuE7ELNS1_3repE0EEENS1_30default_config_static_selectorELNS0_4arch9wavefront6targetE0EEEvT1_
                                        ; -- End function
	.set _ZN7rocprim17ROCPRIM_400000_NS6detail17trampoline_kernelINS0_14default_configENS1_29reduce_by_key_config_selectorIifN6thrust23THRUST_200600_302600_NS4plusIfEEEEZZNS1_33reduce_by_key_impl_wrapped_configILNS1_25lookback_scan_determinismE0ES3_S9_NS6_6detail15normal_iteratorINS6_10device_ptrIiEEEENSD_INSE_IfEEEESG_SI_PmS8_NS6_8equal_toIiEEEE10hipError_tPvRmT2_T3_mT4_T5_T6_T7_T8_P12ihipStream_tbENKUlT_T0_E_clISt17integral_constantIbLb1EES13_EEDaSY_SZ_EUlSY_E_NS1_11comp_targetILNS1_3genE3ELNS1_11target_archE908ELNS1_3gpuE7ELNS1_3repE0EEENS1_30default_config_static_selectorELNS0_4arch9wavefront6targetE0EEEvT1_.num_vgpr, 0
	.set _ZN7rocprim17ROCPRIM_400000_NS6detail17trampoline_kernelINS0_14default_configENS1_29reduce_by_key_config_selectorIifN6thrust23THRUST_200600_302600_NS4plusIfEEEEZZNS1_33reduce_by_key_impl_wrapped_configILNS1_25lookback_scan_determinismE0ES3_S9_NS6_6detail15normal_iteratorINS6_10device_ptrIiEEEENSD_INSE_IfEEEESG_SI_PmS8_NS6_8equal_toIiEEEE10hipError_tPvRmT2_T3_mT4_T5_T6_T7_T8_P12ihipStream_tbENKUlT_T0_E_clISt17integral_constantIbLb1EES13_EEDaSY_SZ_EUlSY_E_NS1_11comp_targetILNS1_3genE3ELNS1_11target_archE908ELNS1_3gpuE7ELNS1_3repE0EEENS1_30default_config_static_selectorELNS0_4arch9wavefront6targetE0EEEvT1_.num_agpr, 0
	.set _ZN7rocprim17ROCPRIM_400000_NS6detail17trampoline_kernelINS0_14default_configENS1_29reduce_by_key_config_selectorIifN6thrust23THRUST_200600_302600_NS4plusIfEEEEZZNS1_33reduce_by_key_impl_wrapped_configILNS1_25lookback_scan_determinismE0ES3_S9_NS6_6detail15normal_iteratorINS6_10device_ptrIiEEEENSD_INSE_IfEEEESG_SI_PmS8_NS6_8equal_toIiEEEE10hipError_tPvRmT2_T3_mT4_T5_T6_T7_T8_P12ihipStream_tbENKUlT_T0_E_clISt17integral_constantIbLb1EES13_EEDaSY_SZ_EUlSY_E_NS1_11comp_targetILNS1_3genE3ELNS1_11target_archE908ELNS1_3gpuE7ELNS1_3repE0EEENS1_30default_config_static_selectorELNS0_4arch9wavefront6targetE0EEEvT1_.numbered_sgpr, 0
	.set _ZN7rocprim17ROCPRIM_400000_NS6detail17trampoline_kernelINS0_14default_configENS1_29reduce_by_key_config_selectorIifN6thrust23THRUST_200600_302600_NS4plusIfEEEEZZNS1_33reduce_by_key_impl_wrapped_configILNS1_25lookback_scan_determinismE0ES3_S9_NS6_6detail15normal_iteratorINS6_10device_ptrIiEEEENSD_INSE_IfEEEESG_SI_PmS8_NS6_8equal_toIiEEEE10hipError_tPvRmT2_T3_mT4_T5_T6_T7_T8_P12ihipStream_tbENKUlT_T0_E_clISt17integral_constantIbLb1EES13_EEDaSY_SZ_EUlSY_E_NS1_11comp_targetILNS1_3genE3ELNS1_11target_archE908ELNS1_3gpuE7ELNS1_3repE0EEENS1_30default_config_static_selectorELNS0_4arch9wavefront6targetE0EEEvT1_.num_named_barrier, 0
	.set _ZN7rocprim17ROCPRIM_400000_NS6detail17trampoline_kernelINS0_14default_configENS1_29reduce_by_key_config_selectorIifN6thrust23THRUST_200600_302600_NS4plusIfEEEEZZNS1_33reduce_by_key_impl_wrapped_configILNS1_25lookback_scan_determinismE0ES3_S9_NS6_6detail15normal_iteratorINS6_10device_ptrIiEEEENSD_INSE_IfEEEESG_SI_PmS8_NS6_8equal_toIiEEEE10hipError_tPvRmT2_T3_mT4_T5_T6_T7_T8_P12ihipStream_tbENKUlT_T0_E_clISt17integral_constantIbLb1EES13_EEDaSY_SZ_EUlSY_E_NS1_11comp_targetILNS1_3genE3ELNS1_11target_archE908ELNS1_3gpuE7ELNS1_3repE0EEENS1_30default_config_static_selectorELNS0_4arch9wavefront6targetE0EEEvT1_.private_seg_size, 0
	.set _ZN7rocprim17ROCPRIM_400000_NS6detail17trampoline_kernelINS0_14default_configENS1_29reduce_by_key_config_selectorIifN6thrust23THRUST_200600_302600_NS4plusIfEEEEZZNS1_33reduce_by_key_impl_wrapped_configILNS1_25lookback_scan_determinismE0ES3_S9_NS6_6detail15normal_iteratorINS6_10device_ptrIiEEEENSD_INSE_IfEEEESG_SI_PmS8_NS6_8equal_toIiEEEE10hipError_tPvRmT2_T3_mT4_T5_T6_T7_T8_P12ihipStream_tbENKUlT_T0_E_clISt17integral_constantIbLb1EES13_EEDaSY_SZ_EUlSY_E_NS1_11comp_targetILNS1_3genE3ELNS1_11target_archE908ELNS1_3gpuE7ELNS1_3repE0EEENS1_30default_config_static_selectorELNS0_4arch9wavefront6targetE0EEEvT1_.uses_vcc, 0
	.set _ZN7rocprim17ROCPRIM_400000_NS6detail17trampoline_kernelINS0_14default_configENS1_29reduce_by_key_config_selectorIifN6thrust23THRUST_200600_302600_NS4plusIfEEEEZZNS1_33reduce_by_key_impl_wrapped_configILNS1_25lookback_scan_determinismE0ES3_S9_NS6_6detail15normal_iteratorINS6_10device_ptrIiEEEENSD_INSE_IfEEEESG_SI_PmS8_NS6_8equal_toIiEEEE10hipError_tPvRmT2_T3_mT4_T5_T6_T7_T8_P12ihipStream_tbENKUlT_T0_E_clISt17integral_constantIbLb1EES13_EEDaSY_SZ_EUlSY_E_NS1_11comp_targetILNS1_3genE3ELNS1_11target_archE908ELNS1_3gpuE7ELNS1_3repE0EEENS1_30default_config_static_selectorELNS0_4arch9wavefront6targetE0EEEvT1_.uses_flat_scratch, 0
	.set _ZN7rocprim17ROCPRIM_400000_NS6detail17trampoline_kernelINS0_14default_configENS1_29reduce_by_key_config_selectorIifN6thrust23THRUST_200600_302600_NS4plusIfEEEEZZNS1_33reduce_by_key_impl_wrapped_configILNS1_25lookback_scan_determinismE0ES3_S9_NS6_6detail15normal_iteratorINS6_10device_ptrIiEEEENSD_INSE_IfEEEESG_SI_PmS8_NS6_8equal_toIiEEEE10hipError_tPvRmT2_T3_mT4_T5_T6_T7_T8_P12ihipStream_tbENKUlT_T0_E_clISt17integral_constantIbLb1EES13_EEDaSY_SZ_EUlSY_E_NS1_11comp_targetILNS1_3genE3ELNS1_11target_archE908ELNS1_3gpuE7ELNS1_3repE0EEENS1_30default_config_static_selectorELNS0_4arch9wavefront6targetE0EEEvT1_.has_dyn_sized_stack, 0
	.set _ZN7rocprim17ROCPRIM_400000_NS6detail17trampoline_kernelINS0_14default_configENS1_29reduce_by_key_config_selectorIifN6thrust23THRUST_200600_302600_NS4plusIfEEEEZZNS1_33reduce_by_key_impl_wrapped_configILNS1_25lookback_scan_determinismE0ES3_S9_NS6_6detail15normal_iteratorINS6_10device_ptrIiEEEENSD_INSE_IfEEEESG_SI_PmS8_NS6_8equal_toIiEEEE10hipError_tPvRmT2_T3_mT4_T5_T6_T7_T8_P12ihipStream_tbENKUlT_T0_E_clISt17integral_constantIbLb1EES13_EEDaSY_SZ_EUlSY_E_NS1_11comp_targetILNS1_3genE3ELNS1_11target_archE908ELNS1_3gpuE7ELNS1_3repE0EEENS1_30default_config_static_selectorELNS0_4arch9wavefront6targetE0EEEvT1_.has_recursion, 0
	.set _ZN7rocprim17ROCPRIM_400000_NS6detail17trampoline_kernelINS0_14default_configENS1_29reduce_by_key_config_selectorIifN6thrust23THRUST_200600_302600_NS4plusIfEEEEZZNS1_33reduce_by_key_impl_wrapped_configILNS1_25lookback_scan_determinismE0ES3_S9_NS6_6detail15normal_iteratorINS6_10device_ptrIiEEEENSD_INSE_IfEEEESG_SI_PmS8_NS6_8equal_toIiEEEE10hipError_tPvRmT2_T3_mT4_T5_T6_T7_T8_P12ihipStream_tbENKUlT_T0_E_clISt17integral_constantIbLb1EES13_EEDaSY_SZ_EUlSY_E_NS1_11comp_targetILNS1_3genE3ELNS1_11target_archE908ELNS1_3gpuE7ELNS1_3repE0EEENS1_30default_config_static_selectorELNS0_4arch9wavefront6targetE0EEEvT1_.has_indirect_call, 0
	.section	.AMDGPU.csdata,"",@progbits
; Kernel info:
; codeLenInByte = 0
; TotalNumSgprs: 0
; NumVgprs: 0
; ScratchSize: 0
; MemoryBound: 0
; FloatMode: 240
; IeeeMode: 1
; LDSByteSize: 0 bytes/workgroup (compile time only)
; SGPRBlocks: 0
; VGPRBlocks: 0
; NumSGPRsForWavesPerEU: 1
; NumVGPRsForWavesPerEU: 1
; Occupancy: 16
; WaveLimiterHint : 0
; COMPUTE_PGM_RSRC2:SCRATCH_EN: 0
; COMPUTE_PGM_RSRC2:USER_SGPR: 6
; COMPUTE_PGM_RSRC2:TRAP_HANDLER: 0
; COMPUTE_PGM_RSRC2:TGID_X_EN: 1
; COMPUTE_PGM_RSRC2:TGID_Y_EN: 0
; COMPUTE_PGM_RSRC2:TGID_Z_EN: 0
; COMPUTE_PGM_RSRC2:TIDIG_COMP_CNT: 0
	.section	.text._ZN7rocprim17ROCPRIM_400000_NS6detail17trampoline_kernelINS0_14default_configENS1_29reduce_by_key_config_selectorIifN6thrust23THRUST_200600_302600_NS4plusIfEEEEZZNS1_33reduce_by_key_impl_wrapped_configILNS1_25lookback_scan_determinismE0ES3_S9_NS6_6detail15normal_iteratorINS6_10device_ptrIiEEEENSD_INSE_IfEEEESG_SI_PmS8_NS6_8equal_toIiEEEE10hipError_tPvRmT2_T3_mT4_T5_T6_T7_T8_P12ihipStream_tbENKUlT_T0_E_clISt17integral_constantIbLb1EES13_EEDaSY_SZ_EUlSY_E_NS1_11comp_targetILNS1_3genE2ELNS1_11target_archE906ELNS1_3gpuE6ELNS1_3repE0EEENS1_30default_config_static_selectorELNS0_4arch9wavefront6targetE0EEEvT1_,"axG",@progbits,_ZN7rocprim17ROCPRIM_400000_NS6detail17trampoline_kernelINS0_14default_configENS1_29reduce_by_key_config_selectorIifN6thrust23THRUST_200600_302600_NS4plusIfEEEEZZNS1_33reduce_by_key_impl_wrapped_configILNS1_25lookback_scan_determinismE0ES3_S9_NS6_6detail15normal_iteratorINS6_10device_ptrIiEEEENSD_INSE_IfEEEESG_SI_PmS8_NS6_8equal_toIiEEEE10hipError_tPvRmT2_T3_mT4_T5_T6_T7_T8_P12ihipStream_tbENKUlT_T0_E_clISt17integral_constantIbLb1EES13_EEDaSY_SZ_EUlSY_E_NS1_11comp_targetILNS1_3genE2ELNS1_11target_archE906ELNS1_3gpuE6ELNS1_3repE0EEENS1_30default_config_static_selectorELNS0_4arch9wavefront6targetE0EEEvT1_,comdat
	.protected	_ZN7rocprim17ROCPRIM_400000_NS6detail17trampoline_kernelINS0_14default_configENS1_29reduce_by_key_config_selectorIifN6thrust23THRUST_200600_302600_NS4plusIfEEEEZZNS1_33reduce_by_key_impl_wrapped_configILNS1_25lookback_scan_determinismE0ES3_S9_NS6_6detail15normal_iteratorINS6_10device_ptrIiEEEENSD_INSE_IfEEEESG_SI_PmS8_NS6_8equal_toIiEEEE10hipError_tPvRmT2_T3_mT4_T5_T6_T7_T8_P12ihipStream_tbENKUlT_T0_E_clISt17integral_constantIbLb1EES13_EEDaSY_SZ_EUlSY_E_NS1_11comp_targetILNS1_3genE2ELNS1_11target_archE906ELNS1_3gpuE6ELNS1_3repE0EEENS1_30default_config_static_selectorELNS0_4arch9wavefront6targetE0EEEvT1_ ; -- Begin function _ZN7rocprim17ROCPRIM_400000_NS6detail17trampoline_kernelINS0_14default_configENS1_29reduce_by_key_config_selectorIifN6thrust23THRUST_200600_302600_NS4plusIfEEEEZZNS1_33reduce_by_key_impl_wrapped_configILNS1_25lookback_scan_determinismE0ES3_S9_NS6_6detail15normal_iteratorINS6_10device_ptrIiEEEENSD_INSE_IfEEEESG_SI_PmS8_NS6_8equal_toIiEEEE10hipError_tPvRmT2_T3_mT4_T5_T6_T7_T8_P12ihipStream_tbENKUlT_T0_E_clISt17integral_constantIbLb1EES13_EEDaSY_SZ_EUlSY_E_NS1_11comp_targetILNS1_3genE2ELNS1_11target_archE906ELNS1_3gpuE6ELNS1_3repE0EEENS1_30default_config_static_selectorELNS0_4arch9wavefront6targetE0EEEvT1_
	.globl	_ZN7rocprim17ROCPRIM_400000_NS6detail17trampoline_kernelINS0_14default_configENS1_29reduce_by_key_config_selectorIifN6thrust23THRUST_200600_302600_NS4plusIfEEEEZZNS1_33reduce_by_key_impl_wrapped_configILNS1_25lookback_scan_determinismE0ES3_S9_NS6_6detail15normal_iteratorINS6_10device_ptrIiEEEENSD_INSE_IfEEEESG_SI_PmS8_NS6_8equal_toIiEEEE10hipError_tPvRmT2_T3_mT4_T5_T6_T7_T8_P12ihipStream_tbENKUlT_T0_E_clISt17integral_constantIbLb1EES13_EEDaSY_SZ_EUlSY_E_NS1_11comp_targetILNS1_3genE2ELNS1_11target_archE906ELNS1_3gpuE6ELNS1_3repE0EEENS1_30default_config_static_selectorELNS0_4arch9wavefront6targetE0EEEvT1_
	.p2align	8
	.type	_ZN7rocprim17ROCPRIM_400000_NS6detail17trampoline_kernelINS0_14default_configENS1_29reduce_by_key_config_selectorIifN6thrust23THRUST_200600_302600_NS4plusIfEEEEZZNS1_33reduce_by_key_impl_wrapped_configILNS1_25lookback_scan_determinismE0ES3_S9_NS6_6detail15normal_iteratorINS6_10device_ptrIiEEEENSD_INSE_IfEEEESG_SI_PmS8_NS6_8equal_toIiEEEE10hipError_tPvRmT2_T3_mT4_T5_T6_T7_T8_P12ihipStream_tbENKUlT_T0_E_clISt17integral_constantIbLb1EES13_EEDaSY_SZ_EUlSY_E_NS1_11comp_targetILNS1_3genE2ELNS1_11target_archE906ELNS1_3gpuE6ELNS1_3repE0EEENS1_30default_config_static_selectorELNS0_4arch9wavefront6targetE0EEEvT1_,@function
_ZN7rocprim17ROCPRIM_400000_NS6detail17trampoline_kernelINS0_14default_configENS1_29reduce_by_key_config_selectorIifN6thrust23THRUST_200600_302600_NS4plusIfEEEEZZNS1_33reduce_by_key_impl_wrapped_configILNS1_25lookback_scan_determinismE0ES3_S9_NS6_6detail15normal_iteratorINS6_10device_ptrIiEEEENSD_INSE_IfEEEESG_SI_PmS8_NS6_8equal_toIiEEEE10hipError_tPvRmT2_T3_mT4_T5_T6_T7_T8_P12ihipStream_tbENKUlT_T0_E_clISt17integral_constantIbLb1EES13_EEDaSY_SZ_EUlSY_E_NS1_11comp_targetILNS1_3genE2ELNS1_11target_archE906ELNS1_3gpuE6ELNS1_3repE0EEENS1_30default_config_static_selectorELNS0_4arch9wavefront6targetE0EEEvT1_: ; @_ZN7rocprim17ROCPRIM_400000_NS6detail17trampoline_kernelINS0_14default_configENS1_29reduce_by_key_config_selectorIifN6thrust23THRUST_200600_302600_NS4plusIfEEEEZZNS1_33reduce_by_key_impl_wrapped_configILNS1_25lookback_scan_determinismE0ES3_S9_NS6_6detail15normal_iteratorINS6_10device_ptrIiEEEENSD_INSE_IfEEEESG_SI_PmS8_NS6_8equal_toIiEEEE10hipError_tPvRmT2_T3_mT4_T5_T6_T7_T8_P12ihipStream_tbENKUlT_T0_E_clISt17integral_constantIbLb1EES13_EEDaSY_SZ_EUlSY_E_NS1_11comp_targetILNS1_3genE2ELNS1_11target_archE906ELNS1_3gpuE6ELNS1_3repE0EEENS1_30default_config_static_selectorELNS0_4arch9wavefront6targetE0EEEvT1_
; %bb.0:
	.section	.rodata,"a",@progbits
	.p2align	6, 0x0
	.amdhsa_kernel _ZN7rocprim17ROCPRIM_400000_NS6detail17trampoline_kernelINS0_14default_configENS1_29reduce_by_key_config_selectorIifN6thrust23THRUST_200600_302600_NS4plusIfEEEEZZNS1_33reduce_by_key_impl_wrapped_configILNS1_25lookback_scan_determinismE0ES3_S9_NS6_6detail15normal_iteratorINS6_10device_ptrIiEEEENSD_INSE_IfEEEESG_SI_PmS8_NS6_8equal_toIiEEEE10hipError_tPvRmT2_T3_mT4_T5_T6_T7_T8_P12ihipStream_tbENKUlT_T0_E_clISt17integral_constantIbLb1EES13_EEDaSY_SZ_EUlSY_E_NS1_11comp_targetILNS1_3genE2ELNS1_11target_archE906ELNS1_3gpuE6ELNS1_3repE0EEENS1_30default_config_static_selectorELNS0_4arch9wavefront6targetE0EEEvT1_
		.amdhsa_group_segment_fixed_size 0
		.amdhsa_private_segment_fixed_size 0
		.amdhsa_kernarg_size 120
		.amdhsa_user_sgpr_count 6
		.amdhsa_user_sgpr_private_segment_buffer 1
		.amdhsa_user_sgpr_dispatch_ptr 0
		.amdhsa_user_sgpr_queue_ptr 0
		.amdhsa_user_sgpr_kernarg_segment_ptr 1
		.amdhsa_user_sgpr_dispatch_id 0
		.amdhsa_user_sgpr_flat_scratch_init 0
		.amdhsa_user_sgpr_private_segment_size 0
		.amdhsa_wavefront_size32 1
		.amdhsa_uses_dynamic_stack 0
		.amdhsa_system_sgpr_private_segment_wavefront_offset 0
		.amdhsa_system_sgpr_workgroup_id_x 1
		.amdhsa_system_sgpr_workgroup_id_y 0
		.amdhsa_system_sgpr_workgroup_id_z 0
		.amdhsa_system_sgpr_workgroup_info 0
		.amdhsa_system_vgpr_workitem_id 0
		.amdhsa_next_free_vgpr 1
		.amdhsa_next_free_sgpr 1
		.amdhsa_reserve_vcc 0
		.amdhsa_reserve_flat_scratch 0
		.amdhsa_float_round_mode_32 0
		.amdhsa_float_round_mode_16_64 0
		.amdhsa_float_denorm_mode_32 3
		.amdhsa_float_denorm_mode_16_64 3
		.amdhsa_dx10_clamp 1
		.amdhsa_ieee_mode 1
		.amdhsa_fp16_overflow 0
		.amdhsa_workgroup_processor_mode 1
		.amdhsa_memory_ordered 1
		.amdhsa_forward_progress 1
		.amdhsa_shared_vgpr_count 0
		.amdhsa_exception_fp_ieee_invalid_op 0
		.amdhsa_exception_fp_denorm_src 0
		.amdhsa_exception_fp_ieee_div_zero 0
		.amdhsa_exception_fp_ieee_overflow 0
		.amdhsa_exception_fp_ieee_underflow 0
		.amdhsa_exception_fp_ieee_inexact 0
		.amdhsa_exception_int_div_zero 0
	.end_amdhsa_kernel
	.section	.text._ZN7rocprim17ROCPRIM_400000_NS6detail17trampoline_kernelINS0_14default_configENS1_29reduce_by_key_config_selectorIifN6thrust23THRUST_200600_302600_NS4plusIfEEEEZZNS1_33reduce_by_key_impl_wrapped_configILNS1_25lookback_scan_determinismE0ES3_S9_NS6_6detail15normal_iteratorINS6_10device_ptrIiEEEENSD_INSE_IfEEEESG_SI_PmS8_NS6_8equal_toIiEEEE10hipError_tPvRmT2_T3_mT4_T5_T6_T7_T8_P12ihipStream_tbENKUlT_T0_E_clISt17integral_constantIbLb1EES13_EEDaSY_SZ_EUlSY_E_NS1_11comp_targetILNS1_3genE2ELNS1_11target_archE906ELNS1_3gpuE6ELNS1_3repE0EEENS1_30default_config_static_selectorELNS0_4arch9wavefront6targetE0EEEvT1_,"axG",@progbits,_ZN7rocprim17ROCPRIM_400000_NS6detail17trampoline_kernelINS0_14default_configENS1_29reduce_by_key_config_selectorIifN6thrust23THRUST_200600_302600_NS4plusIfEEEEZZNS1_33reduce_by_key_impl_wrapped_configILNS1_25lookback_scan_determinismE0ES3_S9_NS6_6detail15normal_iteratorINS6_10device_ptrIiEEEENSD_INSE_IfEEEESG_SI_PmS8_NS6_8equal_toIiEEEE10hipError_tPvRmT2_T3_mT4_T5_T6_T7_T8_P12ihipStream_tbENKUlT_T0_E_clISt17integral_constantIbLb1EES13_EEDaSY_SZ_EUlSY_E_NS1_11comp_targetILNS1_3genE2ELNS1_11target_archE906ELNS1_3gpuE6ELNS1_3repE0EEENS1_30default_config_static_selectorELNS0_4arch9wavefront6targetE0EEEvT1_,comdat
.Lfunc_end80:
	.size	_ZN7rocprim17ROCPRIM_400000_NS6detail17trampoline_kernelINS0_14default_configENS1_29reduce_by_key_config_selectorIifN6thrust23THRUST_200600_302600_NS4plusIfEEEEZZNS1_33reduce_by_key_impl_wrapped_configILNS1_25lookback_scan_determinismE0ES3_S9_NS6_6detail15normal_iteratorINS6_10device_ptrIiEEEENSD_INSE_IfEEEESG_SI_PmS8_NS6_8equal_toIiEEEE10hipError_tPvRmT2_T3_mT4_T5_T6_T7_T8_P12ihipStream_tbENKUlT_T0_E_clISt17integral_constantIbLb1EES13_EEDaSY_SZ_EUlSY_E_NS1_11comp_targetILNS1_3genE2ELNS1_11target_archE906ELNS1_3gpuE6ELNS1_3repE0EEENS1_30default_config_static_selectorELNS0_4arch9wavefront6targetE0EEEvT1_, .Lfunc_end80-_ZN7rocprim17ROCPRIM_400000_NS6detail17trampoline_kernelINS0_14default_configENS1_29reduce_by_key_config_selectorIifN6thrust23THRUST_200600_302600_NS4plusIfEEEEZZNS1_33reduce_by_key_impl_wrapped_configILNS1_25lookback_scan_determinismE0ES3_S9_NS6_6detail15normal_iteratorINS6_10device_ptrIiEEEENSD_INSE_IfEEEESG_SI_PmS8_NS6_8equal_toIiEEEE10hipError_tPvRmT2_T3_mT4_T5_T6_T7_T8_P12ihipStream_tbENKUlT_T0_E_clISt17integral_constantIbLb1EES13_EEDaSY_SZ_EUlSY_E_NS1_11comp_targetILNS1_3genE2ELNS1_11target_archE906ELNS1_3gpuE6ELNS1_3repE0EEENS1_30default_config_static_selectorELNS0_4arch9wavefront6targetE0EEEvT1_
                                        ; -- End function
	.set _ZN7rocprim17ROCPRIM_400000_NS6detail17trampoline_kernelINS0_14default_configENS1_29reduce_by_key_config_selectorIifN6thrust23THRUST_200600_302600_NS4plusIfEEEEZZNS1_33reduce_by_key_impl_wrapped_configILNS1_25lookback_scan_determinismE0ES3_S9_NS6_6detail15normal_iteratorINS6_10device_ptrIiEEEENSD_INSE_IfEEEESG_SI_PmS8_NS6_8equal_toIiEEEE10hipError_tPvRmT2_T3_mT4_T5_T6_T7_T8_P12ihipStream_tbENKUlT_T0_E_clISt17integral_constantIbLb1EES13_EEDaSY_SZ_EUlSY_E_NS1_11comp_targetILNS1_3genE2ELNS1_11target_archE906ELNS1_3gpuE6ELNS1_3repE0EEENS1_30default_config_static_selectorELNS0_4arch9wavefront6targetE0EEEvT1_.num_vgpr, 0
	.set _ZN7rocprim17ROCPRIM_400000_NS6detail17trampoline_kernelINS0_14default_configENS1_29reduce_by_key_config_selectorIifN6thrust23THRUST_200600_302600_NS4plusIfEEEEZZNS1_33reduce_by_key_impl_wrapped_configILNS1_25lookback_scan_determinismE0ES3_S9_NS6_6detail15normal_iteratorINS6_10device_ptrIiEEEENSD_INSE_IfEEEESG_SI_PmS8_NS6_8equal_toIiEEEE10hipError_tPvRmT2_T3_mT4_T5_T6_T7_T8_P12ihipStream_tbENKUlT_T0_E_clISt17integral_constantIbLb1EES13_EEDaSY_SZ_EUlSY_E_NS1_11comp_targetILNS1_3genE2ELNS1_11target_archE906ELNS1_3gpuE6ELNS1_3repE0EEENS1_30default_config_static_selectorELNS0_4arch9wavefront6targetE0EEEvT1_.num_agpr, 0
	.set _ZN7rocprim17ROCPRIM_400000_NS6detail17trampoline_kernelINS0_14default_configENS1_29reduce_by_key_config_selectorIifN6thrust23THRUST_200600_302600_NS4plusIfEEEEZZNS1_33reduce_by_key_impl_wrapped_configILNS1_25lookback_scan_determinismE0ES3_S9_NS6_6detail15normal_iteratorINS6_10device_ptrIiEEEENSD_INSE_IfEEEESG_SI_PmS8_NS6_8equal_toIiEEEE10hipError_tPvRmT2_T3_mT4_T5_T6_T7_T8_P12ihipStream_tbENKUlT_T0_E_clISt17integral_constantIbLb1EES13_EEDaSY_SZ_EUlSY_E_NS1_11comp_targetILNS1_3genE2ELNS1_11target_archE906ELNS1_3gpuE6ELNS1_3repE0EEENS1_30default_config_static_selectorELNS0_4arch9wavefront6targetE0EEEvT1_.numbered_sgpr, 0
	.set _ZN7rocprim17ROCPRIM_400000_NS6detail17trampoline_kernelINS0_14default_configENS1_29reduce_by_key_config_selectorIifN6thrust23THRUST_200600_302600_NS4plusIfEEEEZZNS1_33reduce_by_key_impl_wrapped_configILNS1_25lookback_scan_determinismE0ES3_S9_NS6_6detail15normal_iteratorINS6_10device_ptrIiEEEENSD_INSE_IfEEEESG_SI_PmS8_NS6_8equal_toIiEEEE10hipError_tPvRmT2_T3_mT4_T5_T6_T7_T8_P12ihipStream_tbENKUlT_T0_E_clISt17integral_constantIbLb1EES13_EEDaSY_SZ_EUlSY_E_NS1_11comp_targetILNS1_3genE2ELNS1_11target_archE906ELNS1_3gpuE6ELNS1_3repE0EEENS1_30default_config_static_selectorELNS0_4arch9wavefront6targetE0EEEvT1_.num_named_barrier, 0
	.set _ZN7rocprim17ROCPRIM_400000_NS6detail17trampoline_kernelINS0_14default_configENS1_29reduce_by_key_config_selectorIifN6thrust23THRUST_200600_302600_NS4plusIfEEEEZZNS1_33reduce_by_key_impl_wrapped_configILNS1_25lookback_scan_determinismE0ES3_S9_NS6_6detail15normal_iteratorINS6_10device_ptrIiEEEENSD_INSE_IfEEEESG_SI_PmS8_NS6_8equal_toIiEEEE10hipError_tPvRmT2_T3_mT4_T5_T6_T7_T8_P12ihipStream_tbENKUlT_T0_E_clISt17integral_constantIbLb1EES13_EEDaSY_SZ_EUlSY_E_NS1_11comp_targetILNS1_3genE2ELNS1_11target_archE906ELNS1_3gpuE6ELNS1_3repE0EEENS1_30default_config_static_selectorELNS0_4arch9wavefront6targetE0EEEvT1_.private_seg_size, 0
	.set _ZN7rocprim17ROCPRIM_400000_NS6detail17trampoline_kernelINS0_14default_configENS1_29reduce_by_key_config_selectorIifN6thrust23THRUST_200600_302600_NS4plusIfEEEEZZNS1_33reduce_by_key_impl_wrapped_configILNS1_25lookback_scan_determinismE0ES3_S9_NS6_6detail15normal_iteratorINS6_10device_ptrIiEEEENSD_INSE_IfEEEESG_SI_PmS8_NS6_8equal_toIiEEEE10hipError_tPvRmT2_T3_mT4_T5_T6_T7_T8_P12ihipStream_tbENKUlT_T0_E_clISt17integral_constantIbLb1EES13_EEDaSY_SZ_EUlSY_E_NS1_11comp_targetILNS1_3genE2ELNS1_11target_archE906ELNS1_3gpuE6ELNS1_3repE0EEENS1_30default_config_static_selectorELNS0_4arch9wavefront6targetE0EEEvT1_.uses_vcc, 0
	.set _ZN7rocprim17ROCPRIM_400000_NS6detail17trampoline_kernelINS0_14default_configENS1_29reduce_by_key_config_selectorIifN6thrust23THRUST_200600_302600_NS4plusIfEEEEZZNS1_33reduce_by_key_impl_wrapped_configILNS1_25lookback_scan_determinismE0ES3_S9_NS6_6detail15normal_iteratorINS6_10device_ptrIiEEEENSD_INSE_IfEEEESG_SI_PmS8_NS6_8equal_toIiEEEE10hipError_tPvRmT2_T3_mT4_T5_T6_T7_T8_P12ihipStream_tbENKUlT_T0_E_clISt17integral_constantIbLb1EES13_EEDaSY_SZ_EUlSY_E_NS1_11comp_targetILNS1_3genE2ELNS1_11target_archE906ELNS1_3gpuE6ELNS1_3repE0EEENS1_30default_config_static_selectorELNS0_4arch9wavefront6targetE0EEEvT1_.uses_flat_scratch, 0
	.set _ZN7rocprim17ROCPRIM_400000_NS6detail17trampoline_kernelINS0_14default_configENS1_29reduce_by_key_config_selectorIifN6thrust23THRUST_200600_302600_NS4plusIfEEEEZZNS1_33reduce_by_key_impl_wrapped_configILNS1_25lookback_scan_determinismE0ES3_S9_NS6_6detail15normal_iteratorINS6_10device_ptrIiEEEENSD_INSE_IfEEEESG_SI_PmS8_NS6_8equal_toIiEEEE10hipError_tPvRmT2_T3_mT4_T5_T6_T7_T8_P12ihipStream_tbENKUlT_T0_E_clISt17integral_constantIbLb1EES13_EEDaSY_SZ_EUlSY_E_NS1_11comp_targetILNS1_3genE2ELNS1_11target_archE906ELNS1_3gpuE6ELNS1_3repE0EEENS1_30default_config_static_selectorELNS0_4arch9wavefront6targetE0EEEvT1_.has_dyn_sized_stack, 0
	.set _ZN7rocprim17ROCPRIM_400000_NS6detail17trampoline_kernelINS0_14default_configENS1_29reduce_by_key_config_selectorIifN6thrust23THRUST_200600_302600_NS4plusIfEEEEZZNS1_33reduce_by_key_impl_wrapped_configILNS1_25lookback_scan_determinismE0ES3_S9_NS6_6detail15normal_iteratorINS6_10device_ptrIiEEEENSD_INSE_IfEEEESG_SI_PmS8_NS6_8equal_toIiEEEE10hipError_tPvRmT2_T3_mT4_T5_T6_T7_T8_P12ihipStream_tbENKUlT_T0_E_clISt17integral_constantIbLb1EES13_EEDaSY_SZ_EUlSY_E_NS1_11comp_targetILNS1_3genE2ELNS1_11target_archE906ELNS1_3gpuE6ELNS1_3repE0EEENS1_30default_config_static_selectorELNS0_4arch9wavefront6targetE0EEEvT1_.has_recursion, 0
	.set _ZN7rocprim17ROCPRIM_400000_NS6detail17trampoline_kernelINS0_14default_configENS1_29reduce_by_key_config_selectorIifN6thrust23THRUST_200600_302600_NS4plusIfEEEEZZNS1_33reduce_by_key_impl_wrapped_configILNS1_25lookback_scan_determinismE0ES3_S9_NS6_6detail15normal_iteratorINS6_10device_ptrIiEEEENSD_INSE_IfEEEESG_SI_PmS8_NS6_8equal_toIiEEEE10hipError_tPvRmT2_T3_mT4_T5_T6_T7_T8_P12ihipStream_tbENKUlT_T0_E_clISt17integral_constantIbLb1EES13_EEDaSY_SZ_EUlSY_E_NS1_11comp_targetILNS1_3genE2ELNS1_11target_archE906ELNS1_3gpuE6ELNS1_3repE0EEENS1_30default_config_static_selectorELNS0_4arch9wavefront6targetE0EEEvT1_.has_indirect_call, 0
	.section	.AMDGPU.csdata,"",@progbits
; Kernel info:
; codeLenInByte = 0
; TotalNumSgprs: 0
; NumVgprs: 0
; ScratchSize: 0
; MemoryBound: 0
; FloatMode: 240
; IeeeMode: 1
; LDSByteSize: 0 bytes/workgroup (compile time only)
; SGPRBlocks: 0
; VGPRBlocks: 0
; NumSGPRsForWavesPerEU: 1
; NumVGPRsForWavesPerEU: 1
; Occupancy: 16
; WaveLimiterHint : 0
; COMPUTE_PGM_RSRC2:SCRATCH_EN: 0
; COMPUTE_PGM_RSRC2:USER_SGPR: 6
; COMPUTE_PGM_RSRC2:TRAP_HANDLER: 0
; COMPUTE_PGM_RSRC2:TGID_X_EN: 1
; COMPUTE_PGM_RSRC2:TGID_Y_EN: 0
; COMPUTE_PGM_RSRC2:TGID_Z_EN: 0
; COMPUTE_PGM_RSRC2:TIDIG_COMP_CNT: 0
	.section	.text._ZN7rocprim17ROCPRIM_400000_NS6detail17trampoline_kernelINS0_14default_configENS1_29reduce_by_key_config_selectorIifN6thrust23THRUST_200600_302600_NS4plusIfEEEEZZNS1_33reduce_by_key_impl_wrapped_configILNS1_25lookback_scan_determinismE0ES3_S9_NS6_6detail15normal_iteratorINS6_10device_ptrIiEEEENSD_INSE_IfEEEESG_SI_PmS8_NS6_8equal_toIiEEEE10hipError_tPvRmT2_T3_mT4_T5_T6_T7_T8_P12ihipStream_tbENKUlT_T0_E_clISt17integral_constantIbLb1EES13_EEDaSY_SZ_EUlSY_E_NS1_11comp_targetILNS1_3genE10ELNS1_11target_archE1201ELNS1_3gpuE5ELNS1_3repE0EEENS1_30default_config_static_selectorELNS0_4arch9wavefront6targetE0EEEvT1_,"axG",@progbits,_ZN7rocprim17ROCPRIM_400000_NS6detail17trampoline_kernelINS0_14default_configENS1_29reduce_by_key_config_selectorIifN6thrust23THRUST_200600_302600_NS4plusIfEEEEZZNS1_33reduce_by_key_impl_wrapped_configILNS1_25lookback_scan_determinismE0ES3_S9_NS6_6detail15normal_iteratorINS6_10device_ptrIiEEEENSD_INSE_IfEEEESG_SI_PmS8_NS6_8equal_toIiEEEE10hipError_tPvRmT2_T3_mT4_T5_T6_T7_T8_P12ihipStream_tbENKUlT_T0_E_clISt17integral_constantIbLb1EES13_EEDaSY_SZ_EUlSY_E_NS1_11comp_targetILNS1_3genE10ELNS1_11target_archE1201ELNS1_3gpuE5ELNS1_3repE0EEENS1_30default_config_static_selectorELNS0_4arch9wavefront6targetE0EEEvT1_,comdat
	.protected	_ZN7rocprim17ROCPRIM_400000_NS6detail17trampoline_kernelINS0_14default_configENS1_29reduce_by_key_config_selectorIifN6thrust23THRUST_200600_302600_NS4plusIfEEEEZZNS1_33reduce_by_key_impl_wrapped_configILNS1_25lookback_scan_determinismE0ES3_S9_NS6_6detail15normal_iteratorINS6_10device_ptrIiEEEENSD_INSE_IfEEEESG_SI_PmS8_NS6_8equal_toIiEEEE10hipError_tPvRmT2_T3_mT4_T5_T6_T7_T8_P12ihipStream_tbENKUlT_T0_E_clISt17integral_constantIbLb1EES13_EEDaSY_SZ_EUlSY_E_NS1_11comp_targetILNS1_3genE10ELNS1_11target_archE1201ELNS1_3gpuE5ELNS1_3repE0EEENS1_30default_config_static_selectorELNS0_4arch9wavefront6targetE0EEEvT1_ ; -- Begin function _ZN7rocprim17ROCPRIM_400000_NS6detail17trampoline_kernelINS0_14default_configENS1_29reduce_by_key_config_selectorIifN6thrust23THRUST_200600_302600_NS4plusIfEEEEZZNS1_33reduce_by_key_impl_wrapped_configILNS1_25lookback_scan_determinismE0ES3_S9_NS6_6detail15normal_iteratorINS6_10device_ptrIiEEEENSD_INSE_IfEEEESG_SI_PmS8_NS6_8equal_toIiEEEE10hipError_tPvRmT2_T3_mT4_T5_T6_T7_T8_P12ihipStream_tbENKUlT_T0_E_clISt17integral_constantIbLb1EES13_EEDaSY_SZ_EUlSY_E_NS1_11comp_targetILNS1_3genE10ELNS1_11target_archE1201ELNS1_3gpuE5ELNS1_3repE0EEENS1_30default_config_static_selectorELNS0_4arch9wavefront6targetE0EEEvT1_
	.globl	_ZN7rocprim17ROCPRIM_400000_NS6detail17trampoline_kernelINS0_14default_configENS1_29reduce_by_key_config_selectorIifN6thrust23THRUST_200600_302600_NS4plusIfEEEEZZNS1_33reduce_by_key_impl_wrapped_configILNS1_25lookback_scan_determinismE0ES3_S9_NS6_6detail15normal_iteratorINS6_10device_ptrIiEEEENSD_INSE_IfEEEESG_SI_PmS8_NS6_8equal_toIiEEEE10hipError_tPvRmT2_T3_mT4_T5_T6_T7_T8_P12ihipStream_tbENKUlT_T0_E_clISt17integral_constantIbLb1EES13_EEDaSY_SZ_EUlSY_E_NS1_11comp_targetILNS1_3genE10ELNS1_11target_archE1201ELNS1_3gpuE5ELNS1_3repE0EEENS1_30default_config_static_selectorELNS0_4arch9wavefront6targetE0EEEvT1_
	.p2align	8
	.type	_ZN7rocprim17ROCPRIM_400000_NS6detail17trampoline_kernelINS0_14default_configENS1_29reduce_by_key_config_selectorIifN6thrust23THRUST_200600_302600_NS4plusIfEEEEZZNS1_33reduce_by_key_impl_wrapped_configILNS1_25lookback_scan_determinismE0ES3_S9_NS6_6detail15normal_iteratorINS6_10device_ptrIiEEEENSD_INSE_IfEEEESG_SI_PmS8_NS6_8equal_toIiEEEE10hipError_tPvRmT2_T3_mT4_T5_T6_T7_T8_P12ihipStream_tbENKUlT_T0_E_clISt17integral_constantIbLb1EES13_EEDaSY_SZ_EUlSY_E_NS1_11comp_targetILNS1_3genE10ELNS1_11target_archE1201ELNS1_3gpuE5ELNS1_3repE0EEENS1_30default_config_static_selectorELNS0_4arch9wavefront6targetE0EEEvT1_,@function
_ZN7rocprim17ROCPRIM_400000_NS6detail17trampoline_kernelINS0_14default_configENS1_29reduce_by_key_config_selectorIifN6thrust23THRUST_200600_302600_NS4plusIfEEEEZZNS1_33reduce_by_key_impl_wrapped_configILNS1_25lookback_scan_determinismE0ES3_S9_NS6_6detail15normal_iteratorINS6_10device_ptrIiEEEENSD_INSE_IfEEEESG_SI_PmS8_NS6_8equal_toIiEEEE10hipError_tPvRmT2_T3_mT4_T5_T6_T7_T8_P12ihipStream_tbENKUlT_T0_E_clISt17integral_constantIbLb1EES13_EEDaSY_SZ_EUlSY_E_NS1_11comp_targetILNS1_3genE10ELNS1_11target_archE1201ELNS1_3gpuE5ELNS1_3repE0EEENS1_30default_config_static_selectorELNS0_4arch9wavefront6targetE0EEEvT1_: ; @_ZN7rocprim17ROCPRIM_400000_NS6detail17trampoline_kernelINS0_14default_configENS1_29reduce_by_key_config_selectorIifN6thrust23THRUST_200600_302600_NS4plusIfEEEEZZNS1_33reduce_by_key_impl_wrapped_configILNS1_25lookback_scan_determinismE0ES3_S9_NS6_6detail15normal_iteratorINS6_10device_ptrIiEEEENSD_INSE_IfEEEESG_SI_PmS8_NS6_8equal_toIiEEEE10hipError_tPvRmT2_T3_mT4_T5_T6_T7_T8_P12ihipStream_tbENKUlT_T0_E_clISt17integral_constantIbLb1EES13_EEDaSY_SZ_EUlSY_E_NS1_11comp_targetILNS1_3genE10ELNS1_11target_archE1201ELNS1_3gpuE5ELNS1_3repE0EEENS1_30default_config_static_selectorELNS0_4arch9wavefront6targetE0EEEvT1_
; %bb.0:
	.section	.rodata,"a",@progbits
	.p2align	6, 0x0
	.amdhsa_kernel _ZN7rocprim17ROCPRIM_400000_NS6detail17trampoline_kernelINS0_14default_configENS1_29reduce_by_key_config_selectorIifN6thrust23THRUST_200600_302600_NS4plusIfEEEEZZNS1_33reduce_by_key_impl_wrapped_configILNS1_25lookback_scan_determinismE0ES3_S9_NS6_6detail15normal_iteratorINS6_10device_ptrIiEEEENSD_INSE_IfEEEESG_SI_PmS8_NS6_8equal_toIiEEEE10hipError_tPvRmT2_T3_mT4_T5_T6_T7_T8_P12ihipStream_tbENKUlT_T0_E_clISt17integral_constantIbLb1EES13_EEDaSY_SZ_EUlSY_E_NS1_11comp_targetILNS1_3genE10ELNS1_11target_archE1201ELNS1_3gpuE5ELNS1_3repE0EEENS1_30default_config_static_selectorELNS0_4arch9wavefront6targetE0EEEvT1_
		.amdhsa_group_segment_fixed_size 0
		.amdhsa_private_segment_fixed_size 0
		.amdhsa_kernarg_size 120
		.amdhsa_user_sgpr_count 6
		.amdhsa_user_sgpr_private_segment_buffer 1
		.amdhsa_user_sgpr_dispatch_ptr 0
		.amdhsa_user_sgpr_queue_ptr 0
		.amdhsa_user_sgpr_kernarg_segment_ptr 1
		.amdhsa_user_sgpr_dispatch_id 0
		.amdhsa_user_sgpr_flat_scratch_init 0
		.amdhsa_user_sgpr_private_segment_size 0
		.amdhsa_wavefront_size32 1
		.amdhsa_uses_dynamic_stack 0
		.amdhsa_system_sgpr_private_segment_wavefront_offset 0
		.amdhsa_system_sgpr_workgroup_id_x 1
		.amdhsa_system_sgpr_workgroup_id_y 0
		.amdhsa_system_sgpr_workgroup_id_z 0
		.amdhsa_system_sgpr_workgroup_info 0
		.amdhsa_system_vgpr_workitem_id 0
		.amdhsa_next_free_vgpr 1
		.amdhsa_next_free_sgpr 1
		.amdhsa_reserve_vcc 0
		.amdhsa_reserve_flat_scratch 0
		.amdhsa_float_round_mode_32 0
		.amdhsa_float_round_mode_16_64 0
		.amdhsa_float_denorm_mode_32 3
		.amdhsa_float_denorm_mode_16_64 3
		.amdhsa_dx10_clamp 1
		.amdhsa_ieee_mode 1
		.amdhsa_fp16_overflow 0
		.amdhsa_workgroup_processor_mode 1
		.amdhsa_memory_ordered 1
		.amdhsa_forward_progress 1
		.amdhsa_shared_vgpr_count 0
		.amdhsa_exception_fp_ieee_invalid_op 0
		.amdhsa_exception_fp_denorm_src 0
		.amdhsa_exception_fp_ieee_div_zero 0
		.amdhsa_exception_fp_ieee_overflow 0
		.amdhsa_exception_fp_ieee_underflow 0
		.amdhsa_exception_fp_ieee_inexact 0
		.amdhsa_exception_int_div_zero 0
	.end_amdhsa_kernel
	.section	.text._ZN7rocprim17ROCPRIM_400000_NS6detail17trampoline_kernelINS0_14default_configENS1_29reduce_by_key_config_selectorIifN6thrust23THRUST_200600_302600_NS4plusIfEEEEZZNS1_33reduce_by_key_impl_wrapped_configILNS1_25lookback_scan_determinismE0ES3_S9_NS6_6detail15normal_iteratorINS6_10device_ptrIiEEEENSD_INSE_IfEEEESG_SI_PmS8_NS6_8equal_toIiEEEE10hipError_tPvRmT2_T3_mT4_T5_T6_T7_T8_P12ihipStream_tbENKUlT_T0_E_clISt17integral_constantIbLb1EES13_EEDaSY_SZ_EUlSY_E_NS1_11comp_targetILNS1_3genE10ELNS1_11target_archE1201ELNS1_3gpuE5ELNS1_3repE0EEENS1_30default_config_static_selectorELNS0_4arch9wavefront6targetE0EEEvT1_,"axG",@progbits,_ZN7rocprim17ROCPRIM_400000_NS6detail17trampoline_kernelINS0_14default_configENS1_29reduce_by_key_config_selectorIifN6thrust23THRUST_200600_302600_NS4plusIfEEEEZZNS1_33reduce_by_key_impl_wrapped_configILNS1_25lookback_scan_determinismE0ES3_S9_NS6_6detail15normal_iteratorINS6_10device_ptrIiEEEENSD_INSE_IfEEEESG_SI_PmS8_NS6_8equal_toIiEEEE10hipError_tPvRmT2_T3_mT4_T5_T6_T7_T8_P12ihipStream_tbENKUlT_T0_E_clISt17integral_constantIbLb1EES13_EEDaSY_SZ_EUlSY_E_NS1_11comp_targetILNS1_3genE10ELNS1_11target_archE1201ELNS1_3gpuE5ELNS1_3repE0EEENS1_30default_config_static_selectorELNS0_4arch9wavefront6targetE0EEEvT1_,comdat
.Lfunc_end81:
	.size	_ZN7rocprim17ROCPRIM_400000_NS6detail17trampoline_kernelINS0_14default_configENS1_29reduce_by_key_config_selectorIifN6thrust23THRUST_200600_302600_NS4plusIfEEEEZZNS1_33reduce_by_key_impl_wrapped_configILNS1_25lookback_scan_determinismE0ES3_S9_NS6_6detail15normal_iteratorINS6_10device_ptrIiEEEENSD_INSE_IfEEEESG_SI_PmS8_NS6_8equal_toIiEEEE10hipError_tPvRmT2_T3_mT4_T5_T6_T7_T8_P12ihipStream_tbENKUlT_T0_E_clISt17integral_constantIbLb1EES13_EEDaSY_SZ_EUlSY_E_NS1_11comp_targetILNS1_3genE10ELNS1_11target_archE1201ELNS1_3gpuE5ELNS1_3repE0EEENS1_30default_config_static_selectorELNS0_4arch9wavefront6targetE0EEEvT1_, .Lfunc_end81-_ZN7rocprim17ROCPRIM_400000_NS6detail17trampoline_kernelINS0_14default_configENS1_29reduce_by_key_config_selectorIifN6thrust23THRUST_200600_302600_NS4plusIfEEEEZZNS1_33reduce_by_key_impl_wrapped_configILNS1_25lookback_scan_determinismE0ES3_S9_NS6_6detail15normal_iteratorINS6_10device_ptrIiEEEENSD_INSE_IfEEEESG_SI_PmS8_NS6_8equal_toIiEEEE10hipError_tPvRmT2_T3_mT4_T5_T6_T7_T8_P12ihipStream_tbENKUlT_T0_E_clISt17integral_constantIbLb1EES13_EEDaSY_SZ_EUlSY_E_NS1_11comp_targetILNS1_3genE10ELNS1_11target_archE1201ELNS1_3gpuE5ELNS1_3repE0EEENS1_30default_config_static_selectorELNS0_4arch9wavefront6targetE0EEEvT1_
                                        ; -- End function
	.set _ZN7rocprim17ROCPRIM_400000_NS6detail17trampoline_kernelINS0_14default_configENS1_29reduce_by_key_config_selectorIifN6thrust23THRUST_200600_302600_NS4plusIfEEEEZZNS1_33reduce_by_key_impl_wrapped_configILNS1_25lookback_scan_determinismE0ES3_S9_NS6_6detail15normal_iteratorINS6_10device_ptrIiEEEENSD_INSE_IfEEEESG_SI_PmS8_NS6_8equal_toIiEEEE10hipError_tPvRmT2_T3_mT4_T5_T6_T7_T8_P12ihipStream_tbENKUlT_T0_E_clISt17integral_constantIbLb1EES13_EEDaSY_SZ_EUlSY_E_NS1_11comp_targetILNS1_3genE10ELNS1_11target_archE1201ELNS1_3gpuE5ELNS1_3repE0EEENS1_30default_config_static_selectorELNS0_4arch9wavefront6targetE0EEEvT1_.num_vgpr, 0
	.set _ZN7rocprim17ROCPRIM_400000_NS6detail17trampoline_kernelINS0_14default_configENS1_29reduce_by_key_config_selectorIifN6thrust23THRUST_200600_302600_NS4plusIfEEEEZZNS1_33reduce_by_key_impl_wrapped_configILNS1_25lookback_scan_determinismE0ES3_S9_NS6_6detail15normal_iteratorINS6_10device_ptrIiEEEENSD_INSE_IfEEEESG_SI_PmS8_NS6_8equal_toIiEEEE10hipError_tPvRmT2_T3_mT4_T5_T6_T7_T8_P12ihipStream_tbENKUlT_T0_E_clISt17integral_constantIbLb1EES13_EEDaSY_SZ_EUlSY_E_NS1_11comp_targetILNS1_3genE10ELNS1_11target_archE1201ELNS1_3gpuE5ELNS1_3repE0EEENS1_30default_config_static_selectorELNS0_4arch9wavefront6targetE0EEEvT1_.num_agpr, 0
	.set _ZN7rocprim17ROCPRIM_400000_NS6detail17trampoline_kernelINS0_14default_configENS1_29reduce_by_key_config_selectorIifN6thrust23THRUST_200600_302600_NS4plusIfEEEEZZNS1_33reduce_by_key_impl_wrapped_configILNS1_25lookback_scan_determinismE0ES3_S9_NS6_6detail15normal_iteratorINS6_10device_ptrIiEEEENSD_INSE_IfEEEESG_SI_PmS8_NS6_8equal_toIiEEEE10hipError_tPvRmT2_T3_mT4_T5_T6_T7_T8_P12ihipStream_tbENKUlT_T0_E_clISt17integral_constantIbLb1EES13_EEDaSY_SZ_EUlSY_E_NS1_11comp_targetILNS1_3genE10ELNS1_11target_archE1201ELNS1_3gpuE5ELNS1_3repE0EEENS1_30default_config_static_selectorELNS0_4arch9wavefront6targetE0EEEvT1_.numbered_sgpr, 0
	.set _ZN7rocprim17ROCPRIM_400000_NS6detail17trampoline_kernelINS0_14default_configENS1_29reduce_by_key_config_selectorIifN6thrust23THRUST_200600_302600_NS4plusIfEEEEZZNS1_33reduce_by_key_impl_wrapped_configILNS1_25lookback_scan_determinismE0ES3_S9_NS6_6detail15normal_iteratorINS6_10device_ptrIiEEEENSD_INSE_IfEEEESG_SI_PmS8_NS6_8equal_toIiEEEE10hipError_tPvRmT2_T3_mT4_T5_T6_T7_T8_P12ihipStream_tbENKUlT_T0_E_clISt17integral_constantIbLb1EES13_EEDaSY_SZ_EUlSY_E_NS1_11comp_targetILNS1_3genE10ELNS1_11target_archE1201ELNS1_3gpuE5ELNS1_3repE0EEENS1_30default_config_static_selectorELNS0_4arch9wavefront6targetE0EEEvT1_.num_named_barrier, 0
	.set _ZN7rocprim17ROCPRIM_400000_NS6detail17trampoline_kernelINS0_14default_configENS1_29reduce_by_key_config_selectorIifN6thrust23THRUST_200600_302600_NS4plusIfEEEEZZNS1_33reduce_by_key_impl_wrapped_configILNS1_25lookback_scan_determinismE0ES3_S9_NS6_6detail15normal_iteratorINS6_10device_ptrIiEEEENSD_INSE_IfEEEESG_SI_PmS8_NS6_8equal_toIiEEEE10hipError_tPvRmT2_T3_mT4_T5_T6_T7_T8_P12ihipStream_tbENKUlT_T0_E_clISt17integral_constantIbLb1EES13_EEDaSY_SZ_EUlSY_E_NS1_11comp_targetILNS1_3genE10ELNS1_11target_archE1201ELNS1_3gpuE5ELNS1_3repE0EEENS1_30default_config_static_selectorELNS0_4arch9wavefront6targetE0EEEvT1_.private_seg_size, 0
	.set _ZN7rocprim17ROCPRIM_400000_NS6detail17trampoline_kernelINS0_14default_configENS1_29reduce_by_key_config_selectorIifN6thrust23THRUST_200600_302600_NS4plusIfEEEEZZNS1_33reduce_by_key_impl_wrapped_configILNS1_25lookback_scan_determinismE0ES3_S9_NS6_6detail15normal_iteratorINS6_10device_ptrIiEEEENSD_INSE_IfEEEESG_SI_PmS8_NS6_8equal_toIiEEEE10hipError_tPvRmT2_T3_mT4_T5_T6_T7_T8_P12ihipStream_tbENKUlT_T0_E_clISt17integral_constantIbLb1EES13_EEDaSY_SZ_EUlSY_E_NS1_11comp_targetILNS1_3genE10ELNS1_11target_archE1201ELNS1_3gpuE5ELNS1_3repE0EEENS1_30default_config_static_selectorELNS0_4arch9wavefront6targetE0EEEvT1_.uses_vcc, 0
	.set _ZN7rocprim17ROCPRIM_400000_NS6detail17trampoline_kernelINS0_14default_configENS1_29reduce_by_key_config_selectorIifN6thrust23THRUST_200600_302600_NS4plusIfEEEEZZNS1_33reduce_by_key_impl_wrapped_configILNS1_25lookback_scan_determinismE0ES3_S9_NS6_6detail15normal_iteratorINS6_10device_ptrIiEEEENSD_INSE_IfEEEESG_SI_PmS8_NS6_8equal_toIiEEEE10hipError_tPvRmT2_T3_mT4_T5_T6_T7_T8_P12ihipStream_tbENKUlT_T0_E_clISt17integral_constantIbLb1EES13_EEDaSY_SZ_EUlSY_E_NS1_11comp_targetILNS1_3genE10ELNS1_11target_archE1201ELNS1_3gpuE5ELNS1_3repE0EEENS1_30default_config_static_selectorELNS0_4arch9wavefront6targetE0EEEvT1_.uses_flat_scratch, 0
	.set _ZN7rocprim17ROCPRIM_400000_NS6detail17trampoline_kernelINS0_14default_configENS1_29reduce_by_key_config_selectorIifN6thrust23THRUST_200600_302600_NS4plusIfEEEEZZNS1_33reduce_by_key_impl_wrapped_configILNS1_25lookback_scan_determinismE0ES3_S9_NS6_6detail15normal_iteratorINS6_10device_ptrIiEEEENSD_INSE_IfEEEESG_SI_PmS8_NS6_8equal_toIiEEEE10hipError_tPvRmT2_T3_mT4_T5_T6_T7_T8_P12ihipStream_tbENKUlT_T0_E_clISt17integral_constantIbLb1EES13_EEDaSY_SZ_EUlSY_E_NS1_11comp_targetILNS1_3genE10ELNS1_11target_archE1201ELNS1_3gpuE5ELNS1_3repE0EEENS1_30default_config_static_selectorELNS0_4arch9wavefront6targetE0EEEvT1_.has_dyn_sized_stack, 0
	.set _ZN7rocprim17ROCPRIM_400000_NS6detail17trampoline_kernelINS0_14default_configENS1_29reduce_by_key_config_selectorIifN6thrust23THRUST_200600_302600_NS4plusIfEEEEZZNS1_33reduce_by_key_impl_wrapped_configILNS1_25lookback_scan_determinismE0ES3_S9_NS6_6detail15normal_iteratorINS6_10device_ptrIiEEEENSD_INSE_IfEEEESG_SI_PmS8_NS6_8equal_toIiEEEE10hipError_tPvRmT2_T3_mT4_T5_T6_T7_T8_P12ihipStream_tbENKUlT_T0_E_clISt17integral_constantIbLb1EES13_EEDaSY_SZ_EUlSY_E_NS1_11comp_targetILNS1_3genE10ELNS1_11target_archE1201ELNS1_3gpuE5ELNS1_3repE0EEENS1_30default_config_static_selectorELNS0_4arch9wavefront6targetE0EEEvT1_.has_recursion, 0
	.set _ZN7rocprim17ROCPRIM_400000_NS6detail17trampoline_kernelINS0_14default_configENS1_29reduce_by_key_config_selectorIifN6thrust23THRUST_200600_302600_NS4plusIfEEEEZZNS1_33reduce_by_key_impl_wrapped_configILNS1_25lookback_scan_determinismE0ES3_S9_NS6_6detail15normal_iteratorINS6_10device_ptrIiEEEENSD_INSE_IfEEEESG_SI_PmS8_NS6_8equal_toIiEEEE10hipError_tPvRmT2_T3_mT4_T5_T6_T7_T8_P12ihipStream_tbENKUlT_T0_E_clISt17integral_constantIbLb1EES13_EEDaSY_SZ_EUlSY_E_NS1_11comp_targetILNS1_3genE10ELNS1_11target_archE1201ELNS1_3gpuE5ELNS1_3repE0EEENS1_30default_config_static_selectorELNS0_4arch9wavefront6targetE0EEEvT1_.has_indirect_call, 0
	.section	.AMDGPU.csdata,"",@progbits
; Kernel info:
; codeLenInByte = 0
; TotalNumSgprs: 0
; NumVgprs: 0
; ScratchSize: 0
; MemoryBound: 0
; FloatMode: 240
; IeeeMode: 1
; LDSByteSize: 0 bytes/workgroup (compile time only)
; SGPRBlocks: 0
; VGPRBlocks: 0
; NumSGPRsForWavesPerEU: 1
; NumVGPRsForWavesPerEU: 1
; Occupancy: 16
; WaveLimiterHint : 0
; COMPUTE_PGM_RSRC2:SCRATCH_EN: 0
; COMPUTE_PGM_RSRC2:USER_SGPR: 6
; COMPUTE_PGM_RSRC2:TRAP_HANDLER: 0
; COMPUTE_PGM_RSRC2:TGID_X_EN: 1
; COMPUTE_PGM_RSRC2:TGID_Y_EN: 0
; COMPUTE_PGM_RSRC2:TGID_Z_EN: 0
; COMPUTE_PGM_RSRC2:TIDIG_COMP_CNT: 0
	.section	.text._ZN7rocprim17ROCPRIM_400000_NS6detail17trampoline_kernelINS0_14default_configENS1_29reduce_by_key_config_selectorIifN6thrust23THRUST_200600_302600_NS4plusIfEEEEZZNS1_33reduce_by_key_impl_wrapped_configILNS1_25lookback_scan_determinismE0ES3_S9_NS6_6detail15normal_iteratorINS6_10device_ptrIiEEEENSD_INSE_IfEEEESG_SI_PmS8_NS6_8equal_toIiEEEE10hipError_tPvRmT2_T3_mT4_T5_T6_T7_T8_P12ihipStream_tbENKUlT_T0_E_clISt17integral_constantIbLb1EES13_EEDaSY_SZ_EUlSY_E_NS1_11comp_targetILNS1_3genE10ELNS1_11target_archE1200ELNS1_3gpuE4ELNS1_3repE0EEENS1_30default_config_static_selectorELNS0_4arch9wavefront6targetE0EEEvT1_,"axG",@progbits,_ZN7rocprim17ROCPRIM_400000_NS6detail17trampoline_kernelINS0_14default_configENS1_29reduce_by_key_config_selectorIifN6thrust23THRUST_200600_302600_NS4plusIfEEEEZZNS1_33reduce_by_key_impl_wrapped_configILNS1_25lookback_scan_determinismE0ES3_S9_NS6_6detail15normal_iteratorINS6_10device_ptrIiEEEENSD_INSE_IfEEEESG_SI_PmS8_NS6_8equal_toIiEEEE10hipError_tPvRmT2_T3_mT4_T5_T6_T7_T8_P12ihipStream_tbENKUlT_T0_E_clISt17integral_constantIbLb1EES13_EEDaSY_SZ_EUlSY_E_NS1_11comp_targetILNS1_3genE10ELNS1_11target_archE1200ELNS1_3gpuE4ELNS1_3repE0EEENS1_30default_config_static_selectorELNS0_4arch9wavefront6targetE0EEEvT1_,comdat
	.protected	_ZN7rocprim17ROCPRIM_400000_NS6detail17trampoline_kernelINS0_14default_configENS1_29reduce_by_key_config_selectorIifN6thrust23THRUST_200600_302600_NS4plusIfEEEEZZNS1_33reduce_by_key_impl_wrapped_configILNS1_25lookback_scan_determinismE0ES3_S9_NS6_6detail15normal_iteratorINS6_10device_ptrIiEEEENSD_INSE_IfEEEESG_SI_PmS8_NS6_8equal_toIiEEEE10hipError_tPvRmT2_T3_mT4_T5_T6_T7_T8_P12ihipStream_tbENKUlT_T0_E_clISt17integral_constantIbLb1EES13_EEDaSY_SZ_EUlSY_E_NS1_11comp_targetILNS1_3genE10ELNS1_11target_archE1200ELNS1_3gpuE4ELNS1_3repE0EEENS1_30default_config_static_selectorELNS0_4arch9wavefront6targetE0EEEvT1_ ; -- Begin function _ZN7rocprim17ROCPRIM_400000_NS6detail17trampoline_kernelINS0_14default_configENS1_29reduce_by_key_config_selectorIifN6thrust23THRUST_200600_302600_NS4plusIfEEEEZZNS1_33reduce_by_key_impl_wrapped_configILNS1_25lookback_scan_determinismE0ES3_S9_NS6_6detail15normal_iteratorINS6_10device_ptrIiEEEENSD_INSE_IfEEEESG_SI_PmS8_NS6_8equal_toIiEEEE10hipError_tPvRmT2_T3_mT4_T5_T6_T7_T8_P12ihipStream_tbENKUlT_T0_E_clISt17integral_constantIbLb1EES13_EEDaSY_SZ_EUlSY_E_NS1_11comp_targetILNS1_3genE10ELNS1_11target_archE1200ELNS1_3gpuE4ELNS1_3repE0EEENS1_30default_config_static_selectorELNS0_4arch9wavefront6targetE0EEEvT1_
	.globl	_ZN7rocprim17ROCPRIM_400000_NS6detail17trampoline_kernelINS0_14default_configENS1_29reduce_by_key_config_selectorIifN6thrust23THRUST_200600_302600_NS4plusIfEEEEZZNS1_33reduce_by_key_impl_wrapped_configILNS1_25lookback_scan_determinismE0ES3_S9_NS6_6detail15normal_iteratorINS6_10device_ptrIiEEEENSD_INSE_IfEEEESG_SI_PmS8_NS6_8equal_toIiEEEE10hipError_tPvRmT2_T3_mT4_T5_T6_T7_T8_P12ihipStream_tbENKUlT_T0_E_clISt17integral_constantIbLb1EES13_EEDaSY_SZ_EUlSY_E_NS1_11comp_targetILNS1_3genE10ELNS1_11target_archE1200ELNS1_3gpuE4ELNS1_3repE0EEENS1_30default_config_static_selectorELNS0_4arch9wavefront6targetE0EEEvT1_
	.p2align	8
	.type	_ZN7rocprim17ROCPRIM_400000_NS6detail17trampoline_kernelINS0_14default_configENS1_29reduce_by_key_config_selectorIifN6thrust23THRUST_200600_302600_NS4plusIfEEEEZZNS1_33reduce_by_key_impl_wrapped_configILNS1_25lookback_scan_determinismE0ES3_S9_NS6_6detail15normal_iteratorINS6_10device_ptrIiEEEENSD_INSE_IfEEEESG_SI_PmS8_NS6_8equal_toIiEEEE10hipError_tPvRmT2_T3_mT4_T5_T6_T7_T8_P12ihipStream_tbENKUlT_T0_E_clISt17integral_constantIbLb1EES13_EEDaSY_SZ_EUlSY_E_NS1_11comp_targetILNS1_3genE10ELNS1_11target_archE1200ELNS1_3gpuE4ELNS1_3repE0EEENS1_30default_config_static_selectorELNS0_4arch9wavefront6targetE0EEEvT1_,@function
_ZN7rocprim17ROCPRIM_400000_NS6detail17trampoline_kernelINS0_14default_configENS1_29reduce_by_key_config_selectorIifN6thrust23THRUST_200600_302600_NS4plusIfEEEEZZNS1_33reduce_by_key_impl_wrapped_configILNS1_25lookback_scan_determinismE0ES3_S9_NS6_6detail15normal_iteratorINS6_10device_ptrIiEEEENSD_INSE_IfEEEESG_SI_PmS8_NS6_8equal_toIiEEEE10hipError_tPvRmT2_T3_mT4_T5_T6_T7_T8_P12ihipStream_tbENKUlT_T0_E_clISt17integral_constantIbLb1EES13_EEDaSY_SZ_EUlSY_E_NS1_11comp_targetILNS1_3genE10ELNS1_11target_archE1200ELNS1_3gpuE4ELNS1_3repE0EEENS1_30default_config_static_selectorELNS0_4arch9wavefront6targetE0EEEvT1_: ; @_ZN7rocprim17ROCPRIM_400000_NS6detail17trampoline_kernelINS0_14default_configENS1_29reduce_by_key_config_selectorIifN6thrust23THRUST_200600_302600_NS4plusIfEEEEZZNS1_33reduce_by_key_impl_wrapped_configILNS1_25lookback_scan_determinismE0ES3_S9_NS6_6detail15normal_iteratorINS6_10device_ptrIiEEEENSD_INSE_IfEEEESG_SI_PmS8_NS6_8equal_toIiEEEE10hipError_tPvRmT2_T3_mT4_T5_T6_T7_T8_P12ihipStream_tbENKUlT_T0_E_clISt17integral_constantIbLb1EES13_EEDaSY_SZ_EUlSY_E_NS1_11comp_targetILNS1_3genE10ELNS1_11target_archE1200ELNS1_3gpuE4ELNS1_3repE0EEENS1_30default_config_static_selectorELNS0_4arch9wavefront6targetE0EEEvT1_
; %bb.0:
	.section	.rodata,"a",@progbits
	.p2align	6, 0x0
	.amdhsa_kernel _ZN7rocprim17ROCPRIM_400000_NS6detail17trampoline_kernelINS0_14default_configENS1_29reduce_by_key_config_selectorIifN6thrust23THRUST_200600_302600_NS4plusIfEEEEZZNS1_33reduce_by_key_impl_wrapped_configILNS1_25lookback_scan_determinismE0ES3_S9_NS6_6detail15normal_iteratorINS6_10device_ptrIiEEEENSD_INSE_IfEEEESG_SI_PmS8_NS6_8equal_toIiEEEE10hipError_tPvRmT2_T3_mT4_T5_T6_T7_T8_P12ihipStream_tbENKUlT_T0_E_clISt17integral_constantIbLb1EES13_EEDaSY_SZ_EUlSY_E_NS1_11comp_targetILNS1_3genE10ELNS1_11target_archE1200ELNS1_3gpuE4ELNS1_3repE0EEENS1_30default_config_static_selectorELNS0_4arch9wavefront6targetE0EEEvT1_
		.amdhsa_group_segment_fixed_size 0
		.amdhsa_private_segment_fixed_size 0
		.amdhsa_kernarg_size 120
		.amdhsa_user_sgpr_count 6
		.amdhsa_user_sgpr_private_segment_buffer 1
		.amdhsa_user_sgpr_dispatch_ptr 0
		.amdhsa_user_sgpr_queue_ptr 0
		.amdhsa_user_sgpr_kernarg_segment_ptr 1
		.amdhsa_user_sgpr_dispatch_id 0
		.amdhsa_user_sgpr_flat_scratch_init 0
		.amdhsa_user_sgpr_private_segment_size 0
		.amdhsa_wavefront_size32 1
		.amdhsa_uses_dynamic_stack 0
		.amdhsa_system_sgpr_private_segment_wavefront_offset 0
		.amdhsa_system_sgpr_workgroup_id_x 1
		.amdhsa_system_sgpr_workgroup_id_y 0
		.amdhsa_system_sgpr_workgroup_id_z 0
		.amdhsa_system_sgpr_workgroup_info 0
		.amdhsa_system_vgpr_workitem_id 0
		.amdhsa_next_free_vgpr 1
		.amdhsa_next_free_sgpr 1
		.amdhsa_reserve_vcc 0
		.amdhsa_reserve_flat_scratch 0
		.amdhsa_float_round_mode_32 0
		.amdhsa_float_round_mode_16_64 0
		.amdhsa_float_denorm_mode_32 3
		.amdhsa_float_denorm_mode_16_64 3
		.amdhsa_dx10_clamp 1
		.amdhsa_ieee_mode 1
		.amdhsa_fp16_overflow 0
		.amdhsa_workgroup_processor_mode 1
		.amdhsa_memory_ordered 1
		.amdhsa_forward_progress 1
		.amdhsa_shared_vgpr_count 0
		.amdhsa_exception_fp_ieee_invalid_op 0
		.amdhsa_exception_fp_denorm_src 0
		.amdhsa_exception_fp_ieee_div_zero 0
		.amdhsa_exception_fp_ieee_overflow 0
		.amdhsa_exception_fp_ieee_underflow 0
		.amdhsa_exception_fp_ieee_inexact 0
		.amdhsa_exception_int_div_zero 0
	.end_amdhsa_kernel
	.section	.text._ZN7rocprim17ROCPRIM_400000_NS6detail17trampoline_kernelINS0_14default_configENS1_29reduce_by_key_config_selectorIifN6thrust23THRUST_200600_302600_NS4plusIfEEEEZZNS1_33reduce_by_key_impl_wrapped_configILNS1_25lookback_scan_determinismE0ES3_S9_NS6_6detail15normal_iteratorINS6_10device_ptrIiEEEENSD_INSE_IfEEEESG_SI_PmS8_NS6_8equal_toIiEEEE10hipError_tPvRmT2_T3_mT4_T5_T6_T7_T8_P12ihipStream_tbENKUlT_T0_E_clISt17integral_constantIbLb1EES13_EEDaSY_SZ_EUlSY_E_NS1_11comp_targetILNS1_3genE10ELNS1_11target_archE1200ELNS1_3gpuE4ELNS1_3repE0EEENS1_30default_config_static_selectorELNS0_4arch9wavefront6targetE0EEEvT1_,"axG",@progbits,_ZN7rocprim17ROCPRIM_400000_NS6detail17trampoline_kernelINS0_14default_configENS1_29reduce_by_key_config_selectorIifN6thrust23THRUST_200600_302600_NS4plusIfEEEEZZNS1_33reduce_by_key_impl_wrapped_configILNS1_25lookback_scan_determinismE0ES3_S9_NS6_6detail15normal_iteratorINS6_10device_ptrIiEEEENSD_INSE_IfEEEESG_SI_PmS8_NS6_8equal_toIiEEEE10hipError_tPvRmT2_T3_mT4_T5_T6_T7_T8_P12ihipStream_tbENKUlT_T0_E_clISt17integral_constantIbLb1EES13_EEDaSY_SZ_EUlSY_E_NS1_11comp_targetILNS1_3genE10ELNS1_11target_archE1200ELNS1_3gpuE4ELNS1_3repE0EEENS1_30default_config_static_selectorELNS0_4arch9wavefront6targetE0EEEvT1_,comdat
.Lfunc_end82:
	.size	_ZN7rocprim17ROCPRIM_400000_NS6detail17trampoline_kernelINS0_14default_configENS1_29reduce_by_key_config_selectorIifN6thrust23THRUST_200600_302600_NS4plusIfEEEEZZNS1_33reduce_by_key_impl_wrapped_configILNS1_25lookback_scan_determinismE0ES3_S9_NS6_6detail15normal_iteratorINS6_10device_ptrIiEEEENSD_INSE_IfEEEESG_SI_PmS8_NS6_8equal_toIiEEEE10hipError_tPvRmT2_T3_mT4_T5_T6_T7_T8_P12ihipStream_tbENKUlT_T0_E_clISt17integral_constantIbLb1EES13_EEDaSY_SZ_EUlSY_E_NS1_11comp_targetILNS1_3genE10ELNS1_11target_archE1200ELNS1_3gpuE4ELNS1_3repE0EEENS1_30default_config_static_selectorELNS0_4arch9wavefront6targetE0EEEvT1_, .Lfunc_end82-_ZN7rocprim17ROCPRIM_400000_NS6detail17trampoline_kernelINS0_14default_configENS1_29reduce_by_key_config_selectorIifN6thrust23THRUST_200600_302600_NS4plusIfEEEEZZNS1_33reduce_by_key_impl_wrapped_configILNS1_25lookback_scan_determinismE0ES3_S9_NS6_6detail15normal_iteratorINS6_10device_ptrIiEEEENSD_INSE_IfEEEESG_SI_PmS8_NS6_8equal_toIiEEEE10hipError_tPvRmT2_T3_mT4_T5_T6_T7_T8_P12ihipStream_tbENKUlT_T0_E_clISt17integral_constantIbLb1EES13_EEDaSY_SZ_EUlSY_E_NS1_11comp_targetILNS1_3genE10ELNS1_11target_archE1200ELNS1_3gpuE4ELNS1_3repE0EEENS1_30default_config_static_selectorELNS0_4arch9wavefront6targetE0EEEvT1_
                                        ; -- End function
	.set _ZN7rocprim17ROCPRIM_400000_NS6detail17trampoline_kernelINS0_14default_configENS1_29reduce_by_key_config_selectorIifN6thrust23THRUST_200600_302600_NS4plusIfEEEEZZNS1_33reduce_by_key_impl_wrapped_configILNS1_25lookback_scan_determinismE0ES3_S9_NS6_6detail15normal_iteratorINS6_10device_ptrIiEEEENSD_INSE_IfEEEESG_SI_PmS8_NS6_8equal_toIiEEEE10hipError_tPvRmT2_T3_mT4_T5_T6_T7_T8_P12ihipStream_tbENKUlT_T0_E_clISt17integral_constantIbLb1EES13_EEDaSY_SZ_EUlSY_E_NS1_11comp_targetILNS1_3genE10ELNS1_11target_archE1200ELNS1_3gpuE4ELNS1_3repE0EEENS1_30default_config_static_selectorELNS0_4arch9wavefront6targetE0EEEvT1_.num_vgpr, 0
	.set _ZN7rocprim17ROCPRIM_400000_NS6detail17trampoline_kernelINS0_14default_configENS1_29reduce_by_key_config_selectorIifN6thrust23THRUST_200600_302600_NS4plusIfEEEEZZNS1_33reduce_by_key_impl_wrapped_configILNS1_25lookback_scan_determinismE0ES3_S9_NS6_6detail15normal_iteratorINS6_10device_ptrIiEEEENSD_INSE_IfEEEESG_SI_PmS8_NS6_8equal_toIiEEEE10hipError_tPvRmT2_T3_mT4_T5_T6_T7_T8_P12ihipStream_tbENKUlT_T0_E_clISt17integral_constantIbLb1EES13_EEDaSY_SZ_EUlSY_E_NS1_11comp_targetILNS1_3genE10ELNS1_11target_archE1200ELNS1_3gpuE4ELNS1_3repE0EEENS1_30default_config_static_selectorELNS0_4arch9wavefront6targetE0EEEvT1_.num_agpr, 0
	.set _ZN7rocprim17ROCPRIM_400000_NS6detail17trampoline_kernelINS0_14default_configENS1_29reduce_by_key_config_selectorIifN6thrust23THRUST_200600_302600_NS4plusIfEEEEZZNS1_33reduce_by_key_impl_wrapped_configILNS1_25lookback_scan_determinismE0ES3_S9_NS6_6detail15normal_iteratorINS6_10device_ptrIiEEEENSD_INSE_IfEEEESG_SI_PmS8_NS6_8equal_toIiEEEE10hipError_tPvRmT2_T3_mT4_T5_T6_T7_T8_P12ihipStream_tbENKUlT_T0_E_clISt17integral_constantIbLb1EES13_EEDaSY_SZ_EUlSY_E_NS1_11comp_targetILNS1_3genE10ELNS1_11target_archE1200ELNS1_3gpuE4ELNS1_3repE0EEENS1_30default_config_static_selectorELNS0_4arch9wavefront6targetE0EEEvT1_.numbered_sgpr, 0
	.set _ZN7rocprim17ROCPRIM_400000_NS6detail17trampoline_kernelINS0_14default_configENS1_29reduce_by_key_config_selectorIifN6thrust23THRUST_200600_302600_NS4plusIfEEEEZZNS1_33reduce_by_key_impl_wrapped_configILNS1_25lookback_scan_determinismE0ES3_S9_NS6_6detail15normal_iteratorINS6_10device_ptrIiEEEENSD_INSE_IfEEEESG_SI_PmS8_NS6_8equal_toIiEEEE10hipError_tPvRmT2_T3_mT4_T5_T6_T7_T8_P12ihipStream_tbENKUlT_T0_E_clISt17integral_constantIbLb1EES13_EEDaSY_SZ_EUlSY_E_NS1_11comp_targetILNS1_3genE10ELNS1_11target_archE1200ELNS1_3gpuE4ELNS1_3repE0EEENS1_30default_config_static_selectorELNS0_4arch9wavefront6targetE0EEEvT1_.num_named_barrier, 0
	.set _ZN7rocprim17ROCPRIM_400000_NS6detail17trampoline_kernelINS0_14default_configENS1_29reduce_by_key_config_selectorIifN6thrust23THRUST_200600_302600_NS4plusIfEEEEZZNS1_33reduce_by_key_impl_wrapped_configILNS1_25lookback_scan_determinismE0ES3_S9_NS6_6detail15normal_iteratorINS6_10device_ptrIiEEEENSD_INSE_IfEEEESG_SI_PmS8_NS6_8equal_toIiEEEE10hipError_tPvRmT2_T3_mT4_T5_T6_T7_T8_P12ihipStream_tbENKUlT_T0_E_clISt17integral_constantIbLb1EES13_EEDaSY_SZ_EUlSY_E_NS1_11comp_targetILNS1_3genE10ELNS1_11target_archE1200ELNS1_3gpuE4ELNS1_3repE0EEENS1_30default_config_static_selectorELNS0_4arch9wavefront6targetE0EEEvT1_.private_seg_size, 0
	.set _ZN7rocprim17ROCPRIM_400000_NS6detail17trampoline_kernelINS0_14default_configENS1_29reduce_by_key_config_selectorIifN6thrust23THRUST_200600_302600_NS4plusIfEEEEZZNS1_33reduce_by_key_impl_wrapped_configILNS1_25lookback_scan_determinismE0ES3_S9_NS6_6detail15normal_iteratorINS6_10device_ptrIiEEEENSD_INSE_IfEEEESG_SI_PmS8_NS6_8equal_toIiEEEE10hipError_tPvRmT2_T3_mT4_T5_T6_T7_T8_P12ihipStream_tbENKUlT_T0_E_clISt17integral_constantIbLb1EES13_EEDaSY_SZ_EUlSY_E_NS1_11comp_targetILNS1_3genE10ELNS1_11target_archE1200ELNS1_3gpuE4ELNS1_3repE0EEENS1_30default_config_static_selectorELNS0_4arch9wavefront6targetE0EEEvT1_.uses_vcc, 0
	.set _ZN7rocprim17ROCPRIM_400000_NS6detail17trampoline_kernelINS0_14default_configENS1_29reduce_by_key_config_selectorIifN6thrust23THRUST_200600_302600_NS4plusIfEEEEZZNS1_33reduce_by_key_impl_wrapped_configILNS1_25lookback_scan_determinismE0ES3_S9_NS6_6detail15normal_iteratorINS6_10device_ptrIiEEEENSD_INSE_IfEEEESG_SI_PmS8_NS6_8equal_toIiEEEE10hipError_tPvRmT2_T3_mT4_T5_T6_T7_T8_P12ihipStream_tbENKUlT_T0_E_clISt17integral_constantIbLb1EES13_EEDaSY_SZ_EUlSY_E_NS1_11comp_targetILNS1_3genE10ELNS1_11target_archE1200ELNS1_3gpuE4ELNS1_3repE0EEENS1_30default_config_static_selectorELNS0_4arch9wavefront6targetE0EEEvT1_.uses_flat_scratch, 0
	.set _ZN7rocprim17ROCPRIM_400000_NS6detail17trampoline_kernelINS0_14default_configENS1_29reduce_by_key_config_selectorIifN6thrust23THRUST_200600_302600_NS4plusIfEEEEZZNS1_33reduce_by_key_impl_wrapped_configILNS1_25lookback_scan_determinismE0ES3_S9_NS6_6detail15normal_iteratorINS6_10device_ptrIiEEEENSD_INSE_IfEEEESG_SI_PmS8_NS6_8equal_toIiEEEE10hipError_tPvRmT2_T3_mT4_T5_T6_T7_T8_P12ihipStream_tbENKUlT_T0_E_clISt17integral_constantIbLb1EES13_EEDaSY_SZ_EUlSY_E_NS1_11comp_targetILNS1_3genE10ELNS1_11target_archE1200ELNS1_3gpuE4ELNS1_3repE0EEENS1_30default_config_static_selectorELNS0_4arch9wavefront6targetE0EEEvT1_.has_dyn_sized_stack, 0
	.set _ZN7rocprim17ROCPRIM_400000_NS6detail17trampoline_kernelINS0_14default_configENS1_29reduce_by_key_config_selectorIifN6thrust23THRUST_200600_302600_NS4plusIfEEEEZZNS1_33reduce_by_key_impl_wrapped_configILNS1_25lookback_scan_determinismE0ES3_S9_NS6_6detail15normal_iteratorINS6_10device_ptrIiEEEENSD_INSE_IfEEEESG_SI_PmS8_NS6_8equal_toIiEEEE10hipError_tPvRmT2_T3_mT4_T5_T6_T7_T8_P12ihipStream_tbENKUlT_T0_E_clISt17integral_constantIbLb1EES13_EEDaSY_SZ_EUlSY_E_NS1_11comp_targetILNS1_3genE10ELNS1_11target_archE1200ELNS1_3gpuE4ELNS1_3repE0EEENS1_30default_config_static_selectorELNS0_4arch9wavefront6targetE0EEEvT1_.has_recursion, 0
	.set _ZN7rocprim17ROCPRIM_400000_NS6detail17trampoline_kernelINS0_14default_configENS1_29reduce_by_key_config_selectorIifN6thrust23THRUST_200600_302600_NS4plusIfEEEEZZNS1_33reduce_by_key_impl_wrapped_configILNS1_25lookback_scan_determinismE0ES3_S9_NS6_6detail15normal_iteratorINS6_10device_ptrIiEEEENSD_INSE_IfEEEESG_SI_PmS8_NS6_8equal_toIiEEEE10hipError_tPvRmT2_T3_mT4_T5_T6_T7_T8_P12ihipStream_tbENKUlT_T0_E_clISt17integral_constantIbLb1EES13_EEDaSY_SZ_EUlSY_E_NS1_11comp_targetILNS1_3genE10ELNS1_11target_archE1200ELNS1_3gpuE4ELNS1_3repE0EEENS1_30default_config_static_selectorELNS0_4arch9wavefront6targetE0EEEvT1_.has_indirect_call, 0
	.section	.AMDGPU.csdata,"",@progbits
; Kernel info:
; codeLenInByte = 0
; TotalNumSgprs: 0
; NumVgprs: 0
; ScratchSize: 0
; MemoryBound: 0
; FloatMode: 240
; IeeeMode: 1
; LDSByteSize: 0 bytes/workgroup (compile time only)
; SGPRBlocks: 0
; VGPRBlocks: 0
; NumSGPRsForWavesPerEU: 1
; NumVGPRsForWavesPerEU: 1
; Occupancy: 16
; WaveLimiterHint : 0
; COMPUTE_PGM_RSRC2:SCRATCH_EN: 0
; COMPUTE_PGM_RSRC2:USER_SGPR: 6
; COMPUTE_PGM_RSRC2:TRAP_HANDLER: 0
; COMPUTE_PGM_RSRC2:TGID_X_EN: 1
; COMPUTE_PGM_RSRC2:TGID_Y_EN: 0
; COMPUTE_PGM_RSRC2:TGID_Z_EN: 0
; COMPUTE_PGM_RSRC2:TIDIG_COMP_CNT: 0
	.section	.text._ZN7rocprim17ROCPRIM_400000_NS6detail17trampoline_kernelINS0_14default_configENS1_29reduce_by_key_config_selectorIifN6thrust23THRUST_200600_302600_NS4plusIfEEEEZZNS1_33reduce_by_key_impl_wrapped_configILNS1_25lookback_scan_determinismE0ES3_S9_NS6_6detail15normal_iteratorINS6_10device_ptrIiEEEENSD_INSE_IfEEEESG_SI_PmS8_NS6_8equal_toIiEEEE10hipError_tPvRmT2_T3_mT4_T5_T6_T7_T8_P12ihipStream_tbENKUlT_T0_E_clISt17integral_constantIbLb1EES13_EEDaSY_SZ_EUlSY_E_NS1_11comp_targetILNS1_3genE9ELNS1_11target_archE1100ELNS1_3gpuE3ELNS1_3repE0EEENS1_30default_config_static_selectorELNS0_4arch9wavefront6targetE0EEEvT1_,"axG",@progbits,_ZN7rocprim17ROCPRIM_400000_NS6detail17trampoline_kernelINS0_14default_configENS1_29reduce_by_key_config_selectorIifN6thrust23THRUST_200600_302600_NS4plusIfEEEEZZNS1_33reduce_by_key_impl_wrapped_configILNS1_25lookback_scan_determinismE0ES3_S9_NS6_6detail15normal_iteratorINS6_10device_ptrIiEEEENSD_INSE_IfEEEESG_SI_PmS8_NS6_8equal_toIiEEEE10hipError_tPvRmT2_T3_mT4_T5_T6_T7_T8_P12ihipStream_tbENKUlT_T0_E_clISt17integral_constantIbLb1EES13_EEDaSY_SZ_EUlSY_E_NS1_11comp_targetILNS1_3genE9ELNS1_11target_archE1100ELNS1_3gpuE3ELNS1_3repE0EEENS1_30default_config_static_selectorELNS0_4arch9wavefront6targetE0EEEvT1_,comdat
	.protected	_ZN7rocprim17ROCPRIM_400000_NS6detail17trampoline_kernelINS0_14default_configENS1_29reduce_by_key_config_selectorIifN6thrust23THRUST_200600_302600_NS4plusIfEEEEZZNS1_33reduce_by_key_impl_wrapped_configILNS1_25lookback_scan_determinismE0ES3_S9_NS6_6detail15normal_iteratorINS6_10device_ptrIiEEEENSD_INSE_IfEEEESG_SI_PmS8_NS6_8equal_toIiEEEE10hipError_tPvRmT2_T3_mT4_T5_T6_T7_T8_P12ihipStream_tbENKUlT_T0_E_clISt17integral_constantIbLb1EES13_EEDaSY_SZ_EUlSY_E_NS1_11comp_targetILNS1_3genE9ELNS1_11target_archE1100ELNS1_3gpuE3ELNS1_3repE0EEENS1_30default_config_static_selectorELNS0_4arch9wavefront6targetE0EEEvT1_ ; -- Begin function _ZN7rocprim17ROCPRIM_400000_NS6detail17trampoline_kernelINS0_14default_configENS1_29reduce_by_key_config_selectorIifN6thrust23THRUST_200600_302600_NS4plusIfEEEEZZNS1_33reduce_by_key_impl_wrapped_configILNS1_25lookback_scan_determinismE0ES3_S9_NS6_6detail15normal_iteratorINS6_10device_ptrIiEEEENSD_INSE_IfEEEESG_SI_PmS8_NS6_8equal_toIiEEEE10hipError_tPvRmT2_T3_mT4_T5_T6_T7_T8_P12ihipStream_tbENKUlT_T0_E_clISt17integral_constantIbLb1EES13_EEDaSY_SZ_EUlSY_E_NS1_11comp_targetILNS1_3genE9ELNS1_11target_archE1100ELNS1_3gpuE3ELNS1_3repE0EEENS1_30default_config_static_selectorELNS0_4arch9wavefront6targetE0EEEvT1_
	.globl	_ZN7rocprim17ROCPRIM_400000_NS6detail17trampoline_kernelINS0_14default_configENS1_29reduce_by_key_config_selectorIifN6thrust23THRUST_200600_302600_NS4plusIfEEEEZZNS1_33reduce_by_key_impl_wrapped_configILNS1_25lookback_scan_determinismE0ES3_S9_NS6_6detail15normal_iteratorINS6_10device_ptrIiEEEENSD_INSE_IfEEEESG_SI_PmS8_NS6_8equal_toIiEEEE10hipError_tPvRmT2_T3_mT4_T5_T6_T7_T8_P12ihipStream_tbENKUlT_T0_E_clISt17integral_constantIbLb1EES13_EEDaSY_SZ_EUlSY_E_NS1_11comp_targetILNS1_3genE9ELNS1_11target_archE1100ELNS1_3gpuE3ELNS1_3repE0EEENS1_30default_config_static_selectorELNS0_4arch9wavefront6targetE0EEEvT1_
	.p2align	8
	.type	_ZN7rocprim17ROCPRIM_400000_NS6detail17trampoline_kernelINS0_14default_configENS1_29reduce_by_key_config_selectorIifN6thrust23THRUST_200600_302600_NS4plusIfEEEEZZNS1_33reduce_by_key_impl_wrapped_configILNS1_25lookback_scan_determinismE0ES3_S9_NS6_6detail15normal_iteratorINS6_10device_ptrIiEEEENSD_INSE_IfEEEESG_SI_PmS8_NS6_8equal_toIiEEEE10hipError_tPvRmT2_T3_mT4_T5_T6_T7_T8_P12ihipStream_tbENKUlT_T0_E_clISt17integral_constantIbLb1EES13_EEDaSY_SZ_EUlSY_E_NS1_11comp_targetILNS1_3genE9ELNS1_11target_archE1100ELNS1_3gpuE3ELNS1_3repE0EEENS1_30default_config_static_selectorELNS0_4arch9wavefront6targetE0EEEvT1_,@function
_ZN7rocprim17ROCPRIM_400000_NS6detail17trampoline_kernelINS0_14default_configENS1_29reduce_by_key_config_selectorIifN6thrust23THRUST_200600_302600_NS4plusIfEEEEZZNS1_33reduce_by_key_impl_wrapped_configILNS1_25lookback_scan_determinismE0ES3_S9_NS6_6detail15normal_iteratorINS6_10device_ptrIiEEEENSD_INSE_IfEEEESG_SI_PmS8_NS6_8equal_toIiEEEE10hipError_tPvRmT2_T3_mT4_T5_T6_T7_T8_P12ihipStream_tbENKUlT_T0_E_clISt17integral_constantIbLb1EES13_EEDaSY_SZ_EUlSY_E_NS1_11comp_targetILNS1_3genE9ELNS1_11target_archE1100ELNS1_3gpuE3ELNS1_3repE0EEENS1_30default_config_static_selectorELNS0_4arch9wavefront6targetE0EEEvT1_: ; @_ZN7rocprim17ROCPRIM_400000_NS6detail17trampoline_kernelINS0_14default_configENS1_29reduce_by_key_config_selectorIifN6thrust23THRUST_200600_302600_NS4plusIfEEEEZZNS1_33reduce_by_key_impl_wrapped_configILNS1_25lookback_scan_determinismE0ES3_S9_NS6_6detail15normal_iteratorINS6_10device_ptrIiEEEENSD_INSE_IfEEEESG_SI_PmS8_NS6_8equal_toIiEEEE10hipError_tPvRmT2_T3_mT4_T5_T6_T7_T8_P12ihipStream_tbENKUlT_T0_E_clISt17integral_constantIbLb1EES13_EEDaSY_SZ_EUlSY_E_NS1_11comp_targetILNS1_3genE9ELNS1_11target_archE1100ELNS1_3gpuE3ELNS1_3repE0EEENS1_30default_config_static_selectorELNS0_4arch9wavefront6targetE0EEEvT1_
; %bb.0:
	.section	.rodata,"a",@progbits
	.p2align	6, 0x0
	.amdhsa_kernel _ZN7rocprim17ROCPRIM_400000_NS6detail17trampoline_kernelINS0_14default_configENS1_29reduce_by_key_config_selectorIifN6thrust23THRUST_200600_302600_NS4plusIfEEEEZZNS1_33reduce_by_key_impl_wrapped_configILNS1_25lookback_scan_determinismE0ES3_S9_NS6_6detail15normal_iteratorINS6_10device_ptrIiEEEENSD_INSE_IfEEEESG_SI_PmS8_NS6_8equal_toIiEEEE10hipError_tPvRmT2_T3_mT4_T5_T6_T7_T8_P12ihipStream_tbENKUlT_T0_E_clISt17integral_constantIbLb1EES13_EEDaSY_SZ_EUlSY_E_NS1_11comp_targetILNS1_3genE9ELNS1_11target_archE1100ELNS1_3gpuE3ELNS1_3repE0EEENS1_30default_config_static_selectorELNS0_4arch9wavefront6targetE0EEEvT1_
		.amdhsa_group_segment_fixed_size 0
		.amdhsa_private_segment_fixed_size 0
		.amdhsa_kernarg_size 120
		.amdhsa_user_sgpr_count 6
		.amdhsa_user_sgpr_private_segment_buffer 1
		.amdhsa_user_sgpr_dispatch_ptr 0
		.amdhsa_user_sgpr_queue_ptr 0
		.amdhsa_user_sgpr_kernarg_segment_ptr 1
		.amdhsa_user_sgpr_dispatch_id 0
		.amdhsa_user_sgpr_flat_scratch_init 0
		.amdhsa_user_sgpr_private_segment_size 0
		.amdhsa_wavefront_size32 1
		.amdhsa_uses_dynamic_stack 0
		.amdhsa_system_sgpr_private_segment_wavefront_offset 0
		.amdhsa_system_sgpr_workgroup_id_x 1
		.amdhsa_system_sgpr_workgroup_id_y 0
		.amdhsa_system_sgpr_workgroup_id_z 0
		.amdhsa_system_sgpr_workgroup_info 0
		.amdhsa_system_vgpr_workitem_id 0
		.amdhsa_next_free_vgpr 1
		.amdhsa_next_free_sgpr 1
		.amdhsa_reserve_vcc 0
		.amdhsa_reserve_flat_scratch 0
		.amdhsa_float_round_mode_32 0
		.amdhsa_float_round_mode_16_64 0
		.amdhsa_float_denorm_mode_32 3
		.amdhsa_float_denorm_mode_16_64 3
		.amdhsa_dx10_clamp 1
		.amdhsa_ieee_mode 1
		.amdhsa_fp16_overflow 0
		.amdhsa_workgroup_processor_mode 1
		.amdhsa_memory_ordered 1
		.amdhsa_forward_progress 1
		.amdhsa_shared_vgpr_count 0
		.amdhsa_exception_fp_ieee_invalid_op 0
		.amdhsa_exception_fp_denorm_src 0
		.amdhsa_exception_fp_ieee_div_zero 0
		.amdhsa_exception_fp_ieee_overflow 0
		.amdhsa_exception_fp_ieee_underflow 0
		.amdhsa_exception_fp_ieee_inexact 0
		.amdhsa_exception_int_div_zero 0
	.end_amdhsa_kernel
	.section	.text._ZN7rocprim17ROCPRIM_400000_NS6detail17trampoline_kernelINS0_14default_configENS1_29reduce_by_key_config_selectorIifN6thrust23THRUST_200600_302600_NS4plusIfEEEEZZNS1_33reduce_by_key_impl_wrapped_configILNS1_25lookback_scan_determinismE0ES3_S9_NS6_6detail15normal_iteratorINS6_10device_ptrIiEEEENSD_INSE_IfEEEESG_SI_PmS8_NS6_8equal_toIiEEEE10hipError_tPvRmT2_T3_mT4_T5_T6_T7_T8_P12ihipStream_tbENKUlT_T0_E_clISt17integral_constantIbLb1EES13_EEDaSY_SZ_EUlSY_E_NS1_11comp_targetILNS1_3genE9ELNS1_11target_archE1100ELNS1_3gpuE3ELNS1_3repE0EEENS1_30default_config_static_selectorELNS0_4arch9wavefront6targetE0EEEvT1_,"axG",@progbits,_ZN7rocprim17ROCPRIM_400000_NS6detail17trampoline_kernelINS0_14default_configENS1_29reduce_by_key_config_selectorIifN6thrust23THRUST_200600_302600_NS4plusIfEEEEZZNS1_33reduce_by_key_impl_wrapped_configILNS1_25lookback_scan_determinismE0ES3_S9_NS6_6detail15normal_iteratorINS6_10device_ptrIiEEEENSD_INSE_IfEEEESG_SI_PmS8_NS6_8equal_toIiEEEE10hipError_tPvRmT2_T3_mT4_T5_T6_T7_T8_P12ihipStream_tbENKUlT_T0_E_clISt17integral_constantIbLb1EES13_EEDaSY_SZ_EUlSY_E_NS1_11comp_targetILNS1_3genE9ELNS1_11target_archE1100ELNS1_3gpuE3ELNS1_3repE0EEENS1_30default_config_static_selectorELNS0_4arch9wavefront6targetE0EEEvT1_,comdat
.Lfunc_end83:
	.size	_ZN7rocprim17ROCPRIM_400000_NS6detail17trampoline_kernelINS0_14default_configENS1_29reduce_by_key_config_selectorIifN6thrust23THRUST_200600_302600_NS4plusIfEEEEZZNS1_33reduce_by_key_impl_wrapped_configILNS1_25lookback_scan_determinismE0ES3_S9_NS6_6detail15normal_iteratorINS6_10device_ptrIiEEEENSD_INSE_IfEEEESG_SI_PmS8_NS6_8equal_toIiEEEE10hipError_tPvRmT2_T3_mT4_T5_T6_T7_T8_P12ihipStream_tbENKUlT_T0_E_clISt17integral_constantIbLb1EES13_EEDaSY_SZ_EUlSY_E_NS1_11comp_targetILNS1_3genE9ELNS1_11target_archE1100ELNS1_3gpuE3ELNS1_3repE0EEENS1_30default_config_static_selectorELNS0_4arch9wavefront6targetE0EEEvT1_, .Lfunc_end83-_ZN7rocprim17ROCPRIM_400000_NS6detail17trampoline_kernelINS0_14default_configENS1_29reduce_by_key_config_selectorIifN6thrust23THRUST_200600_302600_NS4plusIfEEEEZZNS1_33reduce_by_key_impl_wrapped_configILNS1_25lookback_scan_determinismE0ES3_S9_NS6_6detail15normal_iteratorINS6_10device_ptrIiEEEENSD_INSE_IfEEEESG_SI_PmS8_NS6_8equal_toIiEEEE10hipError_tPvRmT2_T3_mT4_T5_T6_T7_T8_P12ihipStream_tbENKUlT_T0_E_clISt17integral_constantIbLb1EES13_EEDaSY_SZ_EUlSY_E_NS1_11comp_targetILNS1_3genE9ELNS1_11target_archE1100ELNS1_3gpuE3ELNS1_3repE0EEENS1_30default_config_static_selectorELNS0_4arch9wavefront6targetE0EEEvT1_
                                        ; -- End function
	.set _ZN7rocprim17ROCPRIM_400000_NS6detail17trampoline_kernelINS0_14default_configENS1_29reduce_by_key_config_selectorIifN6thrust23THRUST_200600_302600_NS4plusIfEEEEZZNS1_33reduce_by_key_impl_wrapped_configILNS1_25lookback_scan_determinismE0ES3_S9_NS6_6detail15normal_iteratorINS6_10device_ptrIiEEEENSD_INSE_IfEEEESG_SI_PmS8_NS6_8equal_toIiEEEE10hipError_tPvRmT2_T3_mT4_T5_T6_T7_T8_P12ihipStream_tbENKUlT_T0_E_clISt17integral_constantIbLb1EES13_EEDaSY_SZ_EUlSY_E_NS1_11comp_targetILNS1_3genE9ELNS1_11target_archE1100ELNS1_3gpuE3ELNS1_3repE0EEENS1_30default_config_static_selectorELNS0_4arch9wavefront6targetE0EEEvT1_.num_vgpr, 0
	.set _ZN7rocprim17ROCPRIM_400000_NS6detail17trampoline_kernelINS0_14default_configENS1_29reduce_by_key_config_selectorIifN6thrust23THRUST_200600_302600_NS4plusIfEEEEZZNS1_33reduce_by_key_impl_wrapped_configILNS1_25lookback_scan_determinismE0ES3_S9_NS6_6detail15normal_iteratorINS6_10device_ptrIiEEEENSD_INSE_IfEEEESG_SI_PmS8_NS6_8equal_toIiEEEE10hipError_tPvRmT2_T3_mT4_T5_T6_T7_T8_P12ihipStream_tbENKUlT_T0_E_clISt17integral_constantIbLb1EES13_EEDaSY_SZ_EUlSY_E_NS1_11comp_targetILNS1_3genE9ELNS1_11target_archE1100ELNS1_3gpuE3ELNS1_3repE0EEENS1_30default_config_static_selectorELNS0_4arch9wavefront6targetE0EEEvT1_.num_agpr, 0
	.set _ZN7rocprim17ROCPRIM_400000_NS6detail17trampoline_kernelINS0_14default_configENS1_29reduce_by_key_config_selectorIifN6thrust23THRUST_200600_302600_NS4plusIfEEEEZZNS1_33reduce_by_key_impl_wrapped_configILNS1_25lookback_scan_determinismE0ES3_S9_NS6_6detail15normal_iteratorINS6_10device_ptrIiEEEENSD_INSE_IfEEEESG_SI_PmS8_NS6_8equal_toIiEEEE10hipError_tPvRmT2_T3_mT4_T5_T6_T7_T8_P12ihipStream_tbENKUlT_T0_E_clISt17integral_constantIbLb1EES13_EEDaSY_SZ_EUlSY_E_NS1_11comp_targetILNS1_3genE9ELNS1_11target_archE1100ELNS1_3gpuE3ELNS1_3repE0EEENS1_30default_config_static_selectorELNS0_4arch9wavefront6targetE0EEEvT1_.numbered_sgpr, 0
	.set _ZN7rocprim17ROCPRIM_400000_NS6detail17trampoline_kernelINS0_14default_configENS1_29reduce_by_key_config_selectorIifN6thrust23THRUST_200600_302600_NS4plusIfEEEEZZNS1_33reduce_by_key_impl_wrapped_configILNS1_25lookback_scan_determinismE0ES3_S9_NS6_6detail15normal_iteratorINS6_10device_ptrIiEEEENSD_INSE_IfEEEESG_SI_PmS8_NS6_8equal_toIiEEEE10hipError_tPvRmT2_T3_mT4_T5_T6_T7_T8_P12ihipStream_tbENKUlT_T0_E_clISt17integral_constantIbLb1EES13_EEDaSY_SZ_EUlSY_E_NS1_11comp_targetILNS1_3genE9ELNS1_11target_archE1100ELNS1_3gpuE3ELNS1_3repE0EEENS1_30default_config_static_selectorELNS0_4arch9wavefront6targetE0EEEvT1_.num_named_barrier, 0
	.set _ZN7rocprim17ROCPRIM_400000_NS6detail17trampoline_kernelINS0_14default_configENS1_29reduce_by_key_config_selectorIifN6thrust23THRUST_200600_302600_NS4plusIfEEEEZZNS1_33reduce_by_key_impl_wrapped_configILNS1_25lookback_scan_determinismE0ES3_S9_NS6_6detail15normal_iteratorINS6_10device_ptrIiEEEENSD_INSE_IfEEEESG_SI_PmS8_NS6_8equal_toIiEEEE10hipError_tPvRmT2_T3_mT4_T5_T6_T7_T8_P12ihipStream_tbENKUlT_T0_E_clISt17integral_constantIbLb1EES13_EEDaSY_SZ_EUlSY_E_NS1_11comp_targetILNS1_3genE9ELNS1_11target_archE1100ELNS1_3gpuE3ELNS1_3repE0EEENS1_30default_config_static_selectorELNS0_4arch9wavefront6targetE0EEEvT1_.private_seg_size, 0
	.set _ZN7rocprim17ROCPRIM_400000_NS6detail17trampoline_kernelINS0_14default_configENS1_29reduce_by_key_config_selectorIifN6thrust23THRUST_200600_302600_NS4plusIfEEEEZZNS1_33reduce_by_key_impl_wrapped_configILNS1_25lookback_scan_determinismE0ES3_S9_NS6_6detail15normal_iteratorINS6_10device_ptrIiEEEENSD_INSE_IfEEEESG_SI_PmS8_NS6_8equal_toIiEEEE10hipError_tPvRmT2_T3_mT4_T5_T6_T7_T8_P12ihipStream_tbENKUlT_T0_E_clISt17integral_constantIbLb1EES13_EEDaSY_SZ_EUlSY_E_NS1_11comp_targetILNS1_3genE9ELNS1_11target_archE1100ELNS1_3gpuE3ELNS1_3repE0EEENS1_30default_config_static_selectorELNS0_4arch9wavefront6targetE0EEEvT1_.uses_vcc, 0
	.set _ZN7rocprim17ROCPRIM_400000_NS6detail17trampoline_kernelINS0_14default_configENS1_29reduce_by_key_config_selectorIifN6thrust23THRUST_200600_302600_NS4plusIfEEEEZZNS1_33reduce_by_key_impl_wrapped_configILNS1_25lookback_scan_determinismE0ES3_S9_NS6_6detail15normal_iteratorINS6_10device_ptrIiEEEENSD_INSE_IfEEEESG_SI_PmS8_NS6_8equal_toIiEEEE10hipError_tPvRmT2_T3_mT4_T5_T6_T7_T8_P12ihipStream_tbENKUlT_T0_E_clISt17integral_constantIbLb1EES13_EEDaSY_SZ_EUlSY_E_NS1_11comp_targetILNS1_3genE9ELNS1_11target_archE1100ELNS1_3gpuE3ELNS1_3repE0EEENS1_30default_config_static_selectorELNS0_4arch9wavefront6targetE0EEEvT1_.uses_flat_scratch, 0
	.set _ZN7rocprim17ROCPRIM_400000_NS6detail17trampoline_kernelINS0_14default_configENS1_29reduce_by_key_config_selectorIifN6thrust23THRUST_200600_302600_NS4plusIfEEEEZZNS1_33reduce_by_key_impl_wrapped_configILNS1_25lookback_scan_determinismE0ES3_S9_NS6_6detail15normal_iteratorINS6_10device_ptrIiEEEENSD_INSE_IfEEEESG_SI_PmS8_NS6_8equal_toIiEEEE10hipError_tPvRmT2_T3_mT4_T5_T6_T7_T8_P12ihipStream_tbENKUlT_T0_E_clISt17integral_constantIbLb1EES13_EEDaSY_SZ_EUlSY_E_NS1_11comp_targetILNS1_3genE9ELNS1_11target_archE1100ELNS1_3gpuE3ELNS1_3repE0EEENS1_30default_config_static_selectorELNS0_4arch9wavefront6targetE0EEEvT1_.has_dyn_sized_stack, 0
	.set _ZN7rocprim17ROCPRIM_400000_NS6detail17trampoline_kernelINS0_14default_configENS1_29reduce_by_key_config_selectorIifN6thrust23THRUST_200600_302600_NS4plusIfEEEEZZNS1_33reduce_by_key_impl_wrapped_configILNS1_25lookback_scan_determinismE0ES3_S9_NS6_6detail15normal_iteratorINS6_10device_ptrIiEEEENSD_INSE_IfEEEESG_SI_PmS8_NS6_8equal_toIiEEEE10hipError_tPvRmT2_T3_mT4_T5_T6_T7_T8_P12ihipStream_tbENKUlT_T0_E_clISt17integral_constantIbLb1EES13_EEDaSY_SZ_EUlSY_E_NS1_11comp_targetILNS1_3genE9ELNS1_11target_archE1100ELNS1_3gpuE3ELNS1_3repE0EEENS1_30default_config_static_selectorELNS0_4arch9wavefront6targetE0EEEvT1_.has_recursion, 0
	.set _ZN7rocprim17ROCPRIM_400000_NS6detail17trampoline_kernelINS0_14default_configENS1_29reduce_by_key_config_selectorIifN6thrust23THRUST_200600_302600_NS4plusIfEEEEZZNS1_33reduce_by_key_impl_wrapped_configILNS1_25lookback_scan_determinismE0ES3_S9_NS6_6detail15normal_iteratorINS6_10device_ptrIiEEEENSD_INSE_IfEEEESG_SI_PmS8_NS6_8equal_toIiEEEE10hipError_tPvRmT2_T3_mT4_T5_T6_T7_T8_P12ihipStream_tbENKUlT_T0_E_clISt17integral_constantIbLb1EES13_EEDaSY_SZ_EUlSY_E_NS1_11comp_targetILNS1_3genE9ELNS1_11target_archE1100ELNS1_3gpuE3ELNS1_3repE0EEENS1_30default_config_static_selectorELNS0_4arch9wavefront6targetE0EEEvT1_.has_indirect_call, 0
	.section	.AMDGPU.csdata,"",@progbits
; Kernel info:
; codeLenInByte = 0
; TotalNumSgprs: 0
; NumVgprs: 0
; ScratchSize: 0
; MemoryBound: 0
; FloatMode: 240
; IeeeMode: 1
; LDSByteSize: 0 bytes/workgroup (compile time only)
; SGPRBlocks: 0
; VGPRBlocks: 0
; NumSGPRsForWavesPerEU: 1
; NumVGPRsForWavesPerEU: 1
; Occupancy: 16
; WaveLimiterHint : 0
; COMPUTE_PGM_RSRC2:SCRATCH_EN: 0
; COMPUTE_PGM_RSRC2:USER_SGPR: 6
; COMPUTE_PGM_RSRC2:TRAP_HANDLER: 0
; COMPUTE_PGM_RSRC2:TGID_X_EN: 1
; COMPUTE_PGM_RSRC2:TGID_Y_EN: 0
; COMPUTE_PGM_RSRC2:TGID_Z_EN: 0
; COMPUTE_PGM_RSRC2:TIDIG_COMP_CNT: 0
	.section	.text._ZN7rocprim17ROCPRIM_400000_NS6detail17trampoline_kernelINS0_14default_configENS1_29reduce_by_key_config_selectorIifN6thrust23THRUST_200600_302600_NS4plusIfEEEEZZNS1_33reduce_by_key_impl_wrapped_configILNS1_25lookback_scan_determinismE0ES3_S9_NS6_6detail15normal_iteratorINS6_10device_ptrIiEEEENSD_INSE_IfEEEESG_SI_PmS8_NS6_8equal_toIiEEEE10hipError_tPvRmT2_T3_mT4_T5_T6_T7_T8_P12ihipStream_tbENKUlT_T0_E_clISt17integral_constantIbLb1EES13_EEDaSY_SZ_EUlSY_E_NS1_11comp_targetILNS1_3genE8ELNS1_11target_archE1030ELNS1_3gpuE2ELNS1_3repE0EEENS1_30default_config_static_selectorELNS0_4arch9wavefront6targetE0EEEvT1_,"axG",@progbits,_ZN7rocprim17ROCPRIM_400000_NS6detail17trampoline_kernelINS0_14default_configENS1_29reduce_by_key_config_selectorIifN6thrust23THRUST_200600_302600_NS4plusIfEEEEZZNS1_33reduce_by_key_impl_wrapped_configILNS1_25lookback_scan_determinismE0ES3_S9_NS6_6detail15normal_iteratorINS6_10device_ptrIiEEEENSD_INSE_IfEEEESG_SI_PmS8_NS6_8equal_toIiEEEE10hipError_tPvRmT2_T3_mT4_T5_T6_T7_T8_P12ihipStream_tbENKUlT_T0_E_clISt17integral_constantIbLb1EES13_EEDaSY_SZ_EUlSY_E_NS1_11comp_targetILNS1_3genE8ELNS1_11target_archE1030ELNS1_3gpuE2ELNS1_3repE0EEENS1_30default_config_static_selectorELNS0_4arch9wavefront6targetE0EEEvT1_,comdat
	.protected	_ZN7rocprim17ROCPRIM_400000_NS6detail17trampoline_kernelINS0_14default_configENS1_29reduce_by_key_config_selectorIifN6thrust23THRUST_200600_302600_NS4plusIfEEEEZZNS1_33reduce_by_key_impl_wrapped_configILNS1_25lookback_scan_determinismE0ES3_S9_NS6_6detail15normal_iteratorINS6_10device_ptrIiEEEENSD_INSE_IfEEEESG_SI_PmS8_NS6_8equal_toIiEEEE10hipError_tPvRmT2_T3_mT4_T5_T6_T7_T8_P12ihipStream_tbENKUlT_T0_E_clISt17integral_constantIbLb1EES13_EEDaSY_SZ_EUlSY_E_NS1_11comp_targetILNS1_3genE8ELNS1_11target_archE1030ELNS1_3gpuE2ELNS1_3repE0EEENS1_30default_config_static_selectorELNS0_4arch9wavefront6targetE0EEEvT1_ ; -- Begin function _ZN7rocprim17ROCPRIM_400000_NS6detail17trampoline_kernelINS0_14default_configENS1_29reduce_by_key_config_selectorIifN6thrust23THRUST_200600_302600_NS4plusIfEEEEZZNS1_33reduce_by_key_impl_wrapped_configILNS1_25lookback_scan_determinismE0ES3_S9_NS6_6detail15normal_iteratorINS6_10device_ptrIiEEEENSD_INSE_IfEEEESG_SI_PmS8_NS6_8equal_toIiEEEE10hipError_tPvRmT2_T3_mT4_T5_T6_T7_T8_P12ihipStream_tbENKUlT_T0_E_clISt17integral_constantIbLb1EES13_EEDaSY_SZ_EUlSY_E_NS1_11comp_targetILNS1_3genE8ELNS1_11target_archE1030ELNS1_3gpuE2ELNS1_3repE0EEENS1_30default_config_static_selectorELNS0_4arch9wavefront6targetE0EEEvT1_
	.globl	_ZN7rocprim17ROCPRIM_400000_NS6detail17trampoline_kernelINS0_14default_configENS1_29reduce_by_key_config_selectorIifN6thrust23THRUST_200600_302600_NS4plusIfEEEEZZNS1_33reduce_by_key_impl_wrapped_configILNS1_25lookback_scan_determinismE0ES3_S9_NS6_6detail15normal_iteratorINS6_10device_ptrIiEEEENSD_INSE_IfEEEESG_SI_PmS8_NS6_8equal_toIiEEEE10hipError_tPvRmT2_T3_mT4_T5_T6_T7_T8_P12ihipStream_tbENKUlT_T0_E_clISt17integral_constantIbLb1EES13_EEDaSY_SZ_EUlSY_E_NS1_11comp_targetILNS1_3genE8ELNS1_11target_archE1030ELNS1_3gpuE2ELNS1_3repE0EEENS1_30default_config_static_selectorELNS0_4arch9wavefront6targetE0EEEvT1_
	.p2align	8
	.type	_ZN7rocprim17ROCPRIM_400000_NS6detail17trampoline_kernelINS0_14default_configENS1_29reduce_by_key_config_selectorIifN6thrust23THRUST_200600_302600_NS4plusIfEEEEZZNS1_33reduce_by_key_impl_wrapped_configILNS1_25lookback_scan_determinismE0ES3_S9_NS6_6detail15normal_iteratorINS6_10device_ptrIiEEEENSD_INSE_IfEEEESG_SI_PmS8_NS6_8equal_toIiEEEE10hipError_tPvRmT2_T3_mT4_T5_T6_T7_T8_P12ihipStream_tbENKUlT_T0_E_clISt17integral_constantIbLb1EES13_EEDaSY_SZ_EUlSY_E_NS1_11comp_targetILNS1_3genE8ELNS1_11target_archE1030ELNS1_3gpuE2ELNS1_3repE0EEENS1_30default_config_static_selectorELNS0_4arch9wavefront6targetE0EEEvT1_,@function
_ZN7rocprim17ROCPRIM_400000_NS6detail17trampoline_kernelINS0_14default_configENS1_29reduce_by_key_config_selectorIifN6thrust23THRUST_200600_302600_NS4plusIfEEEEZZNS1_33reduce_by_key_impl_wrapped_configILNS1_25lookback_scan_determinismE0ES3_S9_NS6_6detail15normal_iteratorINS6_10device_ptrIiEEEENSD_INSE_IfEEEESG_SI_PmS8_NS6_8equal_toIiEEEE10hipError_tPvRmT2_T3_mT4_T5_T6_T7_T8_P12ihipStream_tbENKUlT_T0_E_clISt17integral_constantIbLb1EES13_EEDaSY_SZ_EUlSY_E_NS1_11comp_targetILNS1_3genE8ELNS1_11target_archE1030ELNS1_3gpuE2ELNS1_3repE0EEENS1_30default_config_static_selectorELNS0_4arch9wavefront6targetE0EEEvT1_: ; @_ZN7rocprim17ROCPRIM_400000_NS6detail17trampoline_kernelINS0_14default_configENS1_29reduce_by_key_config_selectorIifN6thrust23THRUST_200600_302600_NS4plusIfEEEEZZNS1_33reduce_by_key_impl_wrapped_configILNS1_25lookback_scan_determinismE0ES3_S9_NS6_6detail15normal_iteratorINS6_10device_ptrIiEEEENSD_INSE_IfEEEESG_SI_PmS8_NS6_8equal_toIiEEEE10hipError_tPvRmT2_T3_mT4_T5_T6_T7_T8_P12ihipStream_tbENKUlT_T0_E_clISt17integral_constantIbLb1EES13_EEDaSY_SZ_EUlSY_E_NS1_11comp_targetILNS1_3genE8ELNS1_11target_archE1030ELNS1_3gpuE2ELNS1_3repE0EEENS1_30default_config_static_selectorELNS0_4arch9wavefront6targetE0EEEvT1_
; %bb.0:
	s_endpgm
	.section	.rodata,"a",@progbits
	.p2align	6, 0x0
	.amdhsa_kernel _ZN7rocprim17ROCPRIM_400000_NS6detail17trampoline_kernelINS0_14default_configENS1_29reduce_by_key_config_selectorIifN6thrust23THRUST_200600_302600_NS4plusIfEEEEZZNS1_33reduce_by_key_impl_wrapped_configILNS1_25lookback_scan_determinismE0ES3_S9_NS6_6detail15normal_iteratorINS6_10device_ptrIiEEEENSD_INSE_IfEEEESG_SI_PmS8_NS6_8equal_toIiEEEE10hipError_tPvRmT2_T3_mT4_T5_T6_T7_T8_P12ihipStream_tbENKUlT_T0_E_clISt17integral_constantIbLb1EES13_EEDaSY_SZ_EUlSY_E_NS1_11comp_targetILNS1_3genE8ELNS1_11target_archE1030ELNS1_3gpuE2ELNS1_3repE0EEENS1_30default_config_static_selectorELNS0_4arch9wavefront6targetE0EEEvT1_
		.amdhsa_group_segment_fixed_size 0
		.amdhsa_private_segment_fixed_size 0
		.amdhsa_kernarg_size 120
		.amdhsa_user_sgpr_count 6
		.amdhsa_user_sgpr_private_segment_buffer 1
		.amdhsa_user_sgpr_dispatch_ptr 0
		.amdhsa_user_sgpr_queue_ptr 0
		.amdhsa_user_sgpr_kernarg_segment_ptr 1
		.amdhsa_user_sgpr_dispatch_id 0
		.amdhsa_user_sgpr_flat_scratch_init 0
		.amdhsa_user_sgpr_private_segment_size 0
		.amdhsa_wavefront_size32 1
		.amdhsa_uses_dynamic_stack 0
		.amdhsa_system_sgpr_private_segment_wavefront_offset 0
		.amdhsa_system_sgpr_workgroup_id_x 1
		.amdhsa_system_sgpr_workgroup_id_y 0
		.amdhsa_system_sgpr_workgroup_id_z 0
		.amdhsa_system_sgpr_workgroup_info 0
		.amdhsa_system_vgpr_workitem_id 0
		.amdhsa_next_free_vgpr 1
		.amdhsa_next_free_sgpr 1
		.amdhsa_reserve_vcc 0
		.amdhsa_reserve_flat_scratch 0
		.amdhsa_float_round_mode_32 0
		.amdhsa_float_round_mode_16_64 0
		.amdhsa_float_denorm_mode_32 3
		.amdhsa_float_denorm_mode_16_64 3
		.amdhsa_dx10_clamp 1
		.amdhsa_ieee_mode 1
		.amdhsa_fp16_overflow 0
		.amdhsa_workgroup_processor_mode 1
		.amdhsa_memory_ordered 1
		.amdhsa_forward_progress 1
		.amdhsa_shared_vgpr_count 0
		.amdhsa_exception_fp_ieee_invalid_op 0
		.amdhsa_exception_fp_denorm_src 0
		.amdhsa_exception_fp_ieee_div_zero 0
		.amdhsa_exception_fp_ieee_overflow 0
		.amdhsa_exception_fp_ieee_underflow 0
		.amdhsa_exception_fp_ieee_inexact 0
		.amdhsa_exception_int_div_zero 0
	.end_amdhsa_kernel
	.section	.text._ZN7rocprim17ROCPRIM_400000_NS6detail17trampoline_kernelINS0_14default_configENS1_29reduce_by_key_config_selectorIifN6thrust23THRUST_200600_302600_NS4plusIfEEEEZZNS1_33reduce_by_key_impl_wrapped_configILNS1_25lookback_scan_determinismE0ES3_S9_NS6_6detail15normal_iteratorINS6_10device_ptrIiEEEENSD_INSE_IfEEEESG_SI_PmS8_NS6_8equal_toIiEEEE10hipError_tPvRmT2_T3_mT4_T5_T6_T7_T8_P12ihipStream_tbENKUlT_T0_E_clISt17integral_constantIbLb1EES13_EEDaSY_SZ_EUlSY_E_NS1_11comp_targetILNS1_3genE8ELNS1_11target_archE1030ELNS1_3gpuE2ELNS1_3repE0EEENS1_30default_config_static_selectorELNS0_4arch9wavefront6targetE0EEEvT1_,"axG",@progbits,_ZN7rocprim17ROCPRIM_400000_NS6detail17trampoline_kernelINS0_14default_configENS1_29reduce_by_key_config_selectorIifN6thrust23THRUST_200600_302600_NS4plusIfEEEEZZNS1_33reduce_by_key_impl_wrapped_configILNS1_25lookback_scan_determinismE0ES3_S9_NS6_6detail15normal_iteratorINS6_10device_ptrIiEEEENSD_INSE_IfEEEESG_SI_PmS8_NS6_8equal_toIiEEEE10hipError_tPvRmT2_T3_mT4_T5_T6_T7_T8_P12ihipStream_tbENKUlT_T0_E_clISt17integral_constantIbLb1EES13_EEDaSY_SZ_EUlSY_E_NS1_11comp_targetILNS1_3genE8ELNS1_11target_archE1030ELNS1_3gpuE2ELNS1_3repE0EEENS1_30default_config_static_selectorELNS0_4arch9wavefront6targetE0EEEvT1_,comdat
.Lfunc_end84:
	.size	_ZN7rocprim17ROCPRIM_400000_NS6detail17trampoline_kernelINS0_14default_configENS1_29reduce_by_key_config_selectorIifN6thrust23THRUST_200600_302600_NS4plusIfEEEEZZNS1_33reduce_by_key_impl_wrapped_configILNS1_25lookback_scan_determinismE0ES3_S9_NS6_6detail15normal_iteratorINS6_10device_ptrIiEEEENSD_INSE_IfEEEESG_SI_PmS8_NS6_8equal_toIiEEEE10hipError_tPvRmT2_T3_mT4_T5_T6_T7_T8_P12ihipStream_tbENKUlT_T0_E_clISt17integral_constantIbLb1EES13_EEDaSY_SZ_EUlSY_E_NS1_11comp_targetILNS1_3genE8ELNS1_11target_archE1030ELNS1_3gpuE2ELNS1_3repE0EEENS1_30default_config_static_selectorELNS0_4arch9wavefront6targetE0EEEvT1_, .Lfunc_end84-_ZN7rocprim17ROCPRIM_400000_NS6detail17trampoline_kernelINS0_14default_configENS1_29reduce_by_key_config_selectorIifN6thrust23THRUST_200600_302600_NS4plusIfEEEEZZNS1_33reduce_by_key_impl_wrapped_configILNS1_25lookback_scan_determinismE0ES3_S9_NS6_6detail15normal_iteratorINS6_10device_ptrIiEEEENSD_INSE_IfEEEESG_SI_PmS8_NS6_8equal_toIiEEEE10hipError_tPvRmT2_T3_mT4_T5_T6_T7_T8_P12ihipStream_tbENKUlT_T0_E_clISt17integral_constantIbLb1EES13_EEDaSY_SZ_EUlSY_E_NS1_11comp_targetILNS1_3genE8ELNS1_11target_archE1030ELNS1_3gpuE2ELNS1_3repE0EEENS1_30default_config_static_selectorELNS0_4arch9wavefront6targetE0EEEvT1_
                                        ; -- End function
	.set _ZN7rocprim17ROCPRIM_400000_NS6detail17trampoline_kernelINS0_14default_configENS1_29reduce_by_key_config_selectorIifN6thrust23THRUST_200600_302600_NS4plusIfEEEEZZNS1_33reduce_by_key_impl_wrapped_configILNS1_25lookback_scan_determinismE0ES3_S9_NS6_6detail15normal_iteratorINS6_10device_ptrIiEEEENSD_INSE_IfEEEESG_SI_PmS8_NS6_8equal_toIiEEEE10hipError_tPvRmT2_T3_mT4_T5_T6_T7_T8_P12ihipStream_tbENKUlT_T0_E_clISt17integral_constantIbLb1EES13_EEDaSY_SZ_EUlSY_E_NS1_11comp_targetILNS1_3genE8ELNS1_11target_archE1030ELNS1_3gpuE2ELNS1_3repE0EEENS1_30default_config_static_selectorELNS0_4arch9wavefront6targetE0EEEvT1_.num_vgpr, 0
	.set _ZN7rocprim17ROCPRIM_400000_NS6detail17trampoline_kernelINS0_14default_configENS1_29reduce_by_key_config_selectorIifN6thrust23THRUST_200600_302600_NS4plusIfEEEEZZNS1_33reduce_by_key_impl_wrapped_configILNS1_25lookback_scan_determinismE0ES3_S9_NS6_6detail15normal_iteratorINS6_10device_ptrIiEEEENSD_INSE_IfEEEESG_SI_PmS8_NS6_8equal_toIiEEEE10hipError_tPvRmT2_T3_mT4_T5_T6_T7_T8_P12ihipStream_tbENKUlT_T0_E_clISt17integral_constantIbLb1EES13_EEDaSY_SZ_EUlSY_E_NS1_11comp_targetILNS1_3genE8ELNS1_11target_archE1030ELNS1_3gpuE2ELNS1_3repE0EEENS1_30default_config_static_selectorELNS0_4arch9wavefront6targetE0EEEvT1_.num_agpr, 0
	.set _ZN7rocprim17ROCPRIM_400000_NS6detail17trampoline_kernelINS0_14default_configENS1_29reduce_by_key_config_selectorIifN6thrust23THRUST_200600_302600_NS4plusIfEEEEZZNS1_33reduce_by_key_impl_wrapped_configILNS1_25lookback_scan_determinismE0ES3_S9_NS6_6detail15normal_iteratorINS6_10device_ptrIiEEEENSD_INSE_IfEEEESG_SI_PmS8_NS6_8equal_toIiEEEE10hipError_tPvRmT2_T3_mT4_T5_T6_T7_T8_P12ihipStream_tbENKUlT_T0_E_clISt17integral_constantIbLb1EES13_EEDaSY_SZ_EUlSY_E_NS1_11comp_targetILNS1_3genE8ELNS1_11target_archE1030ELNS1_3gpuE2ELNS1_3repE0EEENS1_30default_config_static_selectorELNS0_4arch9wavefront6targetE0EEEvT1_.numbered_sgpr, 0
	.set _ZN7rocprim17ROCPRIM_400000_NS6detail17trampoline_kernelINS0_14default_configENS1_29reduce_by_key_config_selectorIifN6thrust23THRUST_200600_302600_NS4plusIfEEEEZZNS1_33reduce_by_key_impl_wrapped_configILNS1_25lookback_scan_determinismE0ES3_S9_NS6_6detail15normal_iteratorINS6_10device_ptrIiEEEENSD_INSE_IfEEEESG_SI_PmS8_NS6_8equal_toIiEEEE10hipError_tPvRmT2_T3_mT4_T5_T6_T7_T8_P12ihipStream_tbENKUlT_T0_E_clISt17integral_constantIbLb1EES13_EEDaSY_SZ_EUlSY_E_NS1_11comp_targetILNS1_3genE8ELNS1_11target_archE1030ELNS1_3gpuE2ELNS1_3repE0EEENS1_30default_config_static_selectorELNS0_4arch9wavefront6targetE0EEEvT1_.num_named_barrier, 0
	.set _ZN7rocprim17ROCPRIM_400000_NS6detail17trampoline_kernelINS0_14default_configENS1_29reduce_by_key_config_selectorIifN6thrust23THRUST_200600_302600_NS4plusIfEEEEZZNS1_33reduce_by_key_impl_wrapped_configILNS1_25lookback_scan_determinismE0ES3_S9_NS6_6detail15normal_iteratorINS6_10device_ptrIiEEEENSD_INSE_IfEEEESG_SI_PmS8_NS6_8equal_toIiEEEE10hipError_tPvRmT2_T3_mT4_T5_T6_T7_T8_P12ihipStream_tbENKUlT_T0_E_clISt17integral_constantIbLb1EES13_EEDaSY_SZ_EUlSY_E_NS1_11comp_targetILNS1_3genE8ELNS1_11target_archE1030ELNS1_3gpuE2ELNS1_3repE0EEENS1_30default_config_static_selectorELNS0_4arch9wavefront6targetE0EEEvT1_.private_seg_size, 0
	.set _ZN7rocprim17ROCPRIM_400000_NS6detail17trampoline_kernelINS0_14default_configENS1_29reduce_by_key_config_selectorIifN6thrust23THRUST_200600_302600_NS4plusIfEEEEZZNS1_33reduce_by_key_impl_wrapped_configILNS1_25lookback_scan_determinismE0ES3_S9_NS6_6detail15normal_iteratorINS6_10device_ptrIiEEEENSD_INSE_IfEEEESG_SI_PmS8_NS6_8equal_toIiEEEE10hipError_tPvRmT2_T3_mT4_T5_T6_T7_T8_P12ihipStream_tbENKUlT_T0_E_clISt17integral_constantIbLb1EES13_EEDaSY_SZ_EUlSY_E_NS1_11comp_targetILNS1_3genE8ELNS1_11target_archE1030ELNS1_3gpuE2ELNS1_3repE0EEENS1_30default_config_static_selectorELNS0_4arch9wavefront6targetE0EEEvT1_.uses_vcc, 0
	.set _ZN7rocprim17ROCPRIM_400000_NS6detail17trampoline_kernelINS0_14default_configENS1_29reduce_by_key_config_selectorIifN6thrust23THRUST_200600_302600_NS4plusIfEEEEZZNS1_33reduce_by_key_impl_wrapped_configILNS1_25lookback_scan_determinismE0ES3_S9_NS6_6detail15normal_iteratorINS6_10device_ptrIiEEEENSD_INSE_IfEEEESG_SI_PmS8_NS6_8equal_toIiEEEE10hipError_tPvRmT2_T3_mT4_T5_T6_T7_T8_P12ihipStream_tbENKUlT_T0_E_clISt17integral_constantIbLb1EES13_EEDaSY_SZ_EUlSY_E_NS1_11comp_targetILNS1_3genE8ELNS1_11target_archE1030ELNS1_3gpuE2ELNS1_3repE0EEENS1_30default_config_static_selectorELNS0_4arch9wavefront6targetE0EEEvT1_.uses_flat_scratch, 0
	.set _ZN7rocprim17ROCPRIM_400000_NS6detail17trampoline_kernelINS0_14default_configENS1_29reduce_by_key_config_selectorIifN6thrust23THRUST_200600_302600_NS4plusIfEEEEZZNS1_33reduce_by_key_impl_wrapped_configILNS1_25lookback_scan_determinismE0ES3_S9_NS6_6detail15normal_iteratorINS6_10device_ptrIiEEEENSD_INSE_IfEEEESG_SI_PmS8_NS6_8equal_toIiEEEE10hipError_tPvRmT2_T3_mT4_T5_T6_T7_T8_P12ihipStream_tbENKUlT_T0_E_clISt17integral_constantIbLb1EES13_EEDaSY_SZ_EUlSY_E_NS1_11comp_targetILNS1_3genE8ELNS1_11target_archE1030ELNS1_3gpuE2ELNS1_3repE0EEENS1_30default_config_static_selectorELNS0_4arch9wavefront6targetE0EEEvT1_.has_dyn_sized_stack, 0
	.set _ZN7rocprim17ROCPRIM_400000_NS6detail17trampoline_kernelINS0_14default_configENS1_29reduce_by_key_config_selectorIifN6thrust23THRUST_200600_302600_NS4plusIfEEEEZZNS1_33reduce_by_key_impl_wrapped_configILNS1_25lookback_scan_determinismE0ES3_S9_NS6_6detail15normal_iteratorINS6_10device_ptrIiEEEENSD_INSE_IfEEEESG_SI_PmS8_NS6_8equal_toIiEEEE10hipError_tPvRmT2_T3_mT4_T5_T6_T7_T8_P12ihipStream_tbENKUlT_T0_E_clISt17integral_constantIbLb1EES13_EEDaSY_SZ_EUlSY_E_NS1_11comp_targetILNS1_3genE8ELNS1_11target_archE1030ELNS1_3gpuE2ELNS1_3repE0EEENS1_30default_config_static_selectorELNS0_4arch9wavefront6targetE0EEEvT1_.has_recursion, 0
	.set _ZN7rocprim17ROCPRIM_400000_NS6detail17trampoline_kernelINS0_14default_configENS1_29reduce_by_key_config_selectorIifN6thrust23THRUST_200600_302600_NS4plusIfEEEEZZNS1_33reduce_by_key_impl_wrapped_configILNS1_25lookback_scan_determinismE0ES3_S9_NS6_6detail15normal_iteratorINS6_10device_ptrIiEEEENSD_INSE_IfEEEESG_SI_PmS8_NS6_8equal_toIiEEEE10hipError_tPvRmT2_T3_mT4_T5_T6_T7_T8_P12ihipStream_tbENKUlT_T0_E_clISt17integral_constantIbLb1EES13_EEDaSY_SZ_EUlSY_E_NS1_11comp_targetILNS1_3genE8ELNS1_11target_archE1030ELNS1_3gpuE2ELNS1_3repE0EEENS1_30default_config_static_selectorELNS0_4arch9wavefront6targetE0EEEvT1_.has_indirect_call, 0
	.section	.AMDGPU.csdata,"",@progbits
; Kernel info:
; codeLenInByte = 4
; TotalNumSgprs: 0
; NumVgprs: 0
; ScratchSize: 0
; MemoryBound: 0
; FloatMode: 240
; IeeeMode: 1
; LDSByteSize: 0 bytes/workgroup (compile time only)
; SGPRBlocks: 0
; VGPRBlocks: 0
; NumSGPRsForWavesPerEU: 1
; NumVGPRsForWavesPerEU: 1
; Occupancy: 16
; WaveLimiterHint : 0
; COMPUTE_PGM_RSRC2:SCRATCH_EN: 0
; COMPUTE_PGM_RSRC2:USER_SGPR: 6
; COMPUTE_PGM_RSRC2:TRAP_HANDLER: 0
; COMPUTE_PGM_RSRC2:TGID_X_EN: 1
; COMPUTE_PGM_RSRC2:TGID_Y_EN: 0
; COMPUTE_PGM_RSRC2:TGID_Z_EN: 0
; COMPUTE_PGM_RSRC2:TIDIG_COMP_CNT: 0
	.section	.text._ZN7rocprim17ROCPRIM_400000_NS6detail25reduce_by_key_init_kernelINS1_19lookback_scan_stateINS0_5tupleIJjfEEELb1ELb1EEEfNS1_16block_id_wrapperIjLb0EEEEEvT_jbjPmPT0_T1_,"axG",@progbits,_ZN7rocprim17ROCPRIM_400000_NS6detail25reduce_by_key_init_kernelINS1_19lookback_scan_stateINS0_5tupleIJjfEEELb1ELb1EEEfNS1_16block_id_wrapperIjLb0EEEEEvT_jbjPmPT0_T1_,comdat
	.protected	_ZN7rocprim17ROCPRIM_400000_NS6detail25reduce_by_key_init_kernelINS1_19lookback_scan_stateINS0_5tupleIJjfEEELb1ELb1EEEfNS1_16block_id_wrapperIjLb0EEEEEvT_jbjPmPT0_T1_ ; -- Begin function _ZN7rocprim17ROCPRIM_400000_NS6detail25reduce_by_key_init_kernelINS1_19lookback_scan_stateINS0_5tupleIJjfEEELb1ELb1EEEfNS1_16block_id_wrapperIjLb0EEEEEvT_jbjPmPT0_T1_
	.globl	_ZN7rocprim17ROCPRIM_400000_NS6detail25reduce_by_key_init_kernelINS1_19lookback_scan_stateINS0_5tupleIJjfEEELb1ELb1EEEfNS1_16block_id_wrapperIjLb0EEEEEvT_jbjPmPT0_T1_
	.p2align	8
	.type	_ZN7rocprim17ROCPRIM_400000_NS6detail25reduce_by_key_init_kernelINS1_19lookback_scan_stateINS0_5tupleIJjfEEELb1ELb1EEEfNS1_16block_id_wrapperIjLb0EEEEEvT_jbjPmPT0_T1_,@function
_ZN7rocprim17ROCPRIM_400000_NS6detail25reduce_by_key_init_kernelINS1_19lookback_scan_stateINS0_5tupleIJjfEEELb1ELb1EEEfNS1_16block_id_wrapperIjLb0EEEEEvT_jbjPmPT0_T1_: ; @_ZN7rocprim17ROCPRIM_400000_NS6detail25reduce_by_key_init_kernelINS1_19lookback_scan_stateINS0_5tupleIJjfEEELb1ELb1EEEfNS1_16block_id_wrapperIjLb0EEEEEvT_jbjPmPT0_T1_
; %bb.0:
	s_clause 0x2
	s_load_dword s2, s[4:5], 0x3c
	s_load_dwordx8 s[8:15], s[4:5], 0x8
	s_load_dwordx2 s[0:1], s[4:5], 0x0
	s_waitcnt lgkmcnt(0)
	s_and_b32 s2, s2, 0xffff
	v_mad_u64_u32 v[0:1], null, s6, s2, v[0:1]
	s_and_b32 s2, s9, 1
	s_cmp_eq_u32 s2, 0
	s_mov_b32 s2, -1
	s_cbranch_scc1 .LBB85_7
; %bb.1:
	s_andn2_b32 vcc_lo, exec_lo, s2
	s_cbranch_vccz .LBB85_16
.LBB85_2:
	s_mov_b32 s2, exec_lo
	v_cmpx_gt_u32_e64 s8, v0
	s_cbranch_execz .LBB85_4
.LBB85_3:
	v_add_nc_u32_e32 v1, 32, v0
	v_mov_b32_e32 v2, 0
	v_lshlrev_b64 v[4:5], 4, v[1:2]
	v_mov_b32_e32 v1, v2
	v_mov_b32_e32 v3, v2
	v_add_co_u32 v6, vcc_lo, s0, v4
	v_add_co_ci_u32_e64 v7, null, s1, v5, vcc_lo
	v_mov_b32_e32 v4, v2
	global_store_dwordx4 v[6:7], v[1:4], off
.LBB85_4:
	s_or_b32 exec_lo, exec_lo, s2
	s_mov_b32 s2, exec_lo
	v_cmpx_gt_u32_e32 32, v0
	s_cbranch_execz .LBB85_6
; %bb.5:
	v_mov_b32_e32 v1, 0
	v_mov_b32_e32 v2, 0xff
	v_lshlrev_b64 v[3:4], 4, v[0:1]
	v_mov_b32_e32 v0, v1
	v_add_co_u32 v5, vcc_lo, s0, v3
	v_add_co_ci_u32_e64 v6, null, s1, v4, vcc_lo
	v_mov_b32_e32 v3, v1
	global_store_dwordx4 v[5:6], v[0:3], off
.LBB85_6:
	s_endpgm
.LBB85_7:
	s_cmp_lt_u32 s10, s8
	s_mov_b32 s6, exec_lo
	s_cselect_b32 s2, s10, 0
	v_cmpx_eq_u32_e64 s2, v0
	s_cbranch_execz .LBB85_15
; %bb.8:
	s_add_i32 s2, s10, 32
	s_mov_b32 s3, 0
	v_mov_b32_e32 v5, 0
	s_lshl_b64 s[4:5], s[2:3], 4
	s_mov_b32 s2, exec_lo
	s_add_u32 s4, s0, s4
	s_addc_u32 s5, s1, s5
	v_mov_b32_e32 v1, s4
	v_mov_b32_e32 v2, s5
	;;#ASMSTART
	global_load_dwordx4 v[1:4], v[1:2] off glc dlc	
s_waitcnt vmcnt(0)
	;;#ASMEND
	v_lshrrev_b64 v[10:11], 8, v[1:2]
	v_lshrrev_b64 v[8:9], 16, v[1:2]
	;; [unrolled: 1-line block ×3, first 2 shown]
	v_and_b32_e32 v4, 0xff, v3
	v_cmpx_eq_u64_e32 0, v[4:5]
	s_cbranch_execz .LBB85_14
; %bb.9:
	v_mov_b32_e32 v7, s5
	v_mov_b32_e32 v6, s4
	s_mov_b32 s4, 1
	.p2align	6
.LBB85_10:                              ; =>This Loop Header: Depth=1
                                        ;     Child Loop BB85_11 Depth 2
	s_mov_b32 s5, s4
.LBB85_11:                              ;   Parent Loop BB85_10 Depth=1
                                        ; =>  This Inner Loop Header: Depth=2
	s_add_i32 s5, s5, -1
	s_sleep 1
	s_cmp_eq_u32 s5, 0
	s_cbranch_scc0 .LBB85_11
; %bb.12:                               ;   in Loop: Header=BB85_10 Depth=1
	;;#ASMSTART
	global_load_dwordx4 v[1:4], v[6:7] off glc dlc	
s_waitcnt vmcnt(0)
	;;#ASMEND
	v_and_b32_e32 v4, 0xff, v3
	s_cmp_lt_u32 s4, 32
	s_cselect_b32 s5, -1, 0
	s_cmp_lg_u32 s5, 0
	v_cmp_ne_u64_e32 vcc_lo, 0, v[4:5]
	s_addc_u32 s4, s4, 0
	s_or_b32 s3, vcc_lo, s3
	s_andn2_b32 exec_lo, exec_lo, s3
	s_cbranch_execnz .LBB85_10
; %bb.13:
	s_or_b32 exec_lo, exec_lo, s3
	v_lshrrev_b64 v[6:7], 24, v[1:2]
	v_lshrrev_b64 v[8:9], 16, v[1:2]
	;; [unrolled: 1-line block ×3, first 2 shown]
.LBB85_14:
	s_or_b32 exec_lo, exec_lo, s2
	v_mov_b32_e32 v5, 0
	v_lshlrev_b32_e32 v7, 8, v10
	v_lshlrev_b32_e32 v8, 16, v8
	;; [unrolled: 1-line block ×3, first 2 shown]
	global_load_dwordx2 v[3:4], v5, s[12:13]
	v_perm_b32 v1, v7, v1, 0xc0c0500
	v_and_or_b32 v1, 0xff0000, v8, v1
	s_waitcnt vmcnt(0)
	v_add_co_u32 v1, vcc_lo, v1, v3
	v_add_co_ci_u32_e64 v4, null, 0, v4, vcc_lo
	v_add_co_u32 v3, vcc_lo, v1, v6
	v_add_co_ci_u32_e64 v4, null, 0, v4, vcc_lo
	global_store_dwordx2 v5, v[3:4], s[12:13]
	global_store_dword v5, v2, s[14:15]
.LBB85_15:
	s_or_b32 exec_lo, exec_lo, s6
	s_cbranch_execnz .LBB85_2
.LBB85_16:
	v_cmp_eq_u32_e32 vcc_lo, 0, v0
	s_cmp_lg_u64 s[12:13], 0
	s_cselect_b32 s2, -1, 0
	s_and_b32 s3, s2, vcc_lo
	s_and_saveexec_b32 s2, s3
	s_cbranch_execz .LBB85_18
; %bb.17:
	v_mov_b32_e32 v1, 0
	v_mov_b32_e32 v2, v1
	global_store_dwordx2 v1, v[1:2], s[12:13]
.LBB85_18:
	s_or_b32 exec_lo, exec_lo, s2
	s_mov_b32 s2, exec_lo
	v_cmpx_gt_u32_e64 s8, v0
	s_cbranch_execnz .LBB85_3
	s_branch .LBB85_4
	.section	.rodata,"a",@progbits
	.p2align	6, 0x0
	.amdhsa_kernel _ZN7rocprim17ROCPRIM_400000_NS6detail25reduce_by_key_init_kernelINS1_19lookback_scan_stateINS0_5tupleIJjfEEELb1ELb1EEEfNS1_16block_id_wrapperIjLb0EEEEEvT_jbjPmPT0_T1_
		.amdhsa_group_segment_fixed_size 0
		.amdhsa_private_segment_fixed_size 0
		.amdhsa_kernarg_size 304
		.amdhsa_user_sgpr_count 6
		.amdhsa_user_sgpr_private_segment_buffer 1
		.amdhsa_user_sgpr_dispatch_ptr 0
		.amdhsa_user_sgpr_queue_ptr 0
		.amdhsa_user_sgpr_kernarg_segment_ptr 1
		.amdhsa_user_sgpr_dispatch_id 0
		.amdhsa_user_sgpr_flat_scratch_init 0
		.amdhsa_user_sgpr_private_segment_size 0
		.amdhsa_wavefront_size32 1
		.amdhsa_uses_dynamic_stack 0
		.amdhsa_system_sgpr_private_segment_wavefront_offset 0
		.amdhsa_system_sgpr_workgroup_id_x 1
		.amdhsa_system_sgpr_workgroup_id_y 0
		.amdhsa_system_sgpr_workgroup_id_z 0
		.amdhsa_system_sgpr_workgroup_info 0
		.amdhsa_system_vgpr_workitem_id 0
		.amdhsa_next_free_vgpr 12
		.amdhsa_next_free_sgpr 16
		.amdhsa_reserve_vcc 1
		.amdhsa_reserve_flat_scratch 0
		.amdhsa_float_round_mode_32 0
		.amdhsa_float_round_mode_16_64 0
		.amdhsa_float_denorm_mode_32 3
		.amdhsa_float_denorm_mode_16_64 3
		.amdhsa_dx10_clamp 1
		.amdhsa_ieee_mode 1
		.amdhsa_fp16_overflow 0
		.amdhsa_workgroup_processor_mode 1
		.amdhsa_memory_ordered 1
		.amdhsa_forward_progress 1
		.amdhsa_shared_vgpr_count 0
		.amdhsa_exception_fp_ieee_invalid_op 0
		.amdhsa_exception_fp_denorm_src 0
		.amdhsa_exception_fp_ieee_div_zero 0
		.amdhsa_exception_fp_ieee_overflow 0
		.amdhsa_exception_fp_ieee_underflow 0
		.amdhsa_exception_fp_ieee_inexact 0
		.amdhsa_exception_int_div_zero 0
	.end_amdhsa_kernel
	.section	.text._ZN7rocprim17ROCPRIM_400000_NS6detail25reduce_by_key_init_kernelINS1_19lookback_scan_stateINS0_5tupleIJjfEEELb1ELb1EEEfNS1_16block_id_wrapperIjLb0EEEEEvT_jbjPmPT0_T1_,"axG",@progbits,_ZN7rocprim17ROCPRIM_400000_NS6detail25reduce_by_key_init_kernelINS1_19lookback_scan_stateINS0_5tupleIJjfEEELb1ELb1EEEfNS1_16block_id_wrapperIjLb0EEEEEvT_jbjPmPT0_T1_,comdat
.Lfunc_end85:
	.size	_ZN7rocprim17ROCPRIM_400000_NS6detail25reduce_by_key_init_kernelINS1_19lookback_scan_stateINS0_5tupleIJjfEEELb1ELb1EEEfNS1_16block_id_wrapperIjLb0EEEEEvT_jbjPmPT0_T1_, .Lfunc_end85-_ZN7rocprim17ROCPRIM_400000_NS6detail25reduce_by_key_init_kernelINS1_19lookback_scan_stateINS0_5tupleIJjfEEELb1ELb1EEEfNS1_16block_id_wrapperIjLb0EEEEEvT_jbjPmPT0_T1_
                                        ; -- End function
	.set _ZN7rocprim17ROCPRIM_400000_NS6detail25reduce_by_key_init_kernelINS1_19lookback_scan_stateINS0_5tupleIJjfEEELb1ELb1EEEfNS1_16block_id_wrapperIjLb0EEEEEvT_jbjPmPT0_T1_.num_vgpr, 12
	.set _ZN7rocprim17ROCPRIM_400000_NS6detail25reduce_by_key_init_kernelINS1_19lookback_scan_stateINS0_5tupleIJjfEEELb1ELb1EEEfNS1_16block_id_wrapperIjLb0EEEEEvT_jbjPmPT0_T1_.num_agpr, 0
	.set _ZN7rocprim17ROCPRIM_400000_NS6detail25reduce_by_key_init_kernelINS1_19lookback_scan_stateINS0_5tupleIJjfEEELb1ELb1EEEfNS1_16block_id_wrapperIjLb0EEEEEvT_jbjPmPT0_T1_.numbered_sgpr, 16
	.set _ZN7rocprim17ROCPRIM_400000_NS6detail25reduce_by_key_init_kernelINS1_19lookback_scan_stateINS0_5tupleIJjfEEELb1ELb1EEEfNS1_16block_id_wrapperIjLb0EEEEEvT_jbjPmPT0_T1_.num_named_barrier, 0
	.set _ZN7rocprim17ROCPRIM_400000_NS6detail25reduce_by_key_init_kernelINS1_19lookback_scan_stateINS0_5tupleIJjfEEELb1ELb1EEEfNS1_16block_id_wrapperIjLb0EEEEEvT_jbjPmPT0_T1_.private_seg_size, 0
	.set _ZN7rocprim17ROCPRIM_400000_NS6detail25reduce_by_key_init_kernelINS1_19lookback_scan_stateINS0_5tupleIJjfEEELb1ELb1EEEfNS1_16block_id_wrapperIjLb0EEEEEvT_jbjPmPT0_T1_.uses_vcc, 1
	.set _ZN7rocprim17ROCPRIM_400000_NS6detail25reduce_by_key_init_kernelINS1_19lookback_scan_stateINS0_5tupleIJjfEEELb1ELb1EEEfNS1_16block_id_wrapperIjLb0EEEEEvT_jbjPmPT0_T1_.uses_flat_scratch, 0
	.set _ZN7rocprim17ROCPRIM_400000_NS6detail25reduce_by_key_init_kernelINS1_19lookback_scan_stateINS0_5tupleIJjfEEELb1ELb1EEEfNS1_16block_id_wrapperIjLb0EEEEEvT_jbjPmPT0_T1_.has_dyn_sized_stack, 0
	.set _ZN7rocprim17ROCPRIM_400000_NS6detail25reduce_by_key_init_kernelINS1_19lookback_scan_stateINS0_5tupleIJjfEEELb1ELb1EEEfNS1_16block_id_wrapperIjLb0EEEEEvT_jbjPmPT0_T1_.has_recursion, 0
	.set _ZN7rocprim17ROCPRIM_400000_NS6detail25reduce_by_key_init_kernelINS1_19lookback_scan_stateINS0_5tupleIJjfEEELb1ELb1EEEfNS1_16block_id_wrapperIjLb0EEEEEvT_jbjPmPT0_T1_.has_indirect_call, 0
	.section	.AMDGPU.csdata,"",@progbits
; Kernel info:
; codeLenInByte = 688
; TotalNumSgprs: 18
; NumVgprs: 12
; ScratchSize: 0
; MemoryBound: 0
; FloatMode: 240
; IeeeMode: 1
; LDSByteSize: 0 bytes/workgroup (compile time only)
; SGPRBlocks: 0
; VGPRBlocks: 1
; NumSGPRsForWavesPerEU: 18
; NumVGPRsForWavesPerEU: 12
; Occupancy: 16
; WaveLimiterHint : 0
; COMPUTE_PGM_RSRC2:SCRATCH_EN: 0
; COMPUTE_PGM_RSRC2:USER_SGPR: 6
; COMPUTE_PGM_RSRC2:TRAP_HANDLER: 0
; COMPUTE_PGM_RSRC2:TGID_X_EN: 1
; COMPUTE_PGM_RSRC2:TGID_Y_EN: 0
; COMPUTE_PGM_RSRC2:TGID_Z_EN: 0
; COMPUTE_PGM_RSRC2:TIDIG_COMP_CNT: 0
	.section	.text._ZN7rocprim17ROCPRIM_400000_NS6detail17trampoline_kernelINS0_14default_configENS1_29reduce_by_key_config_selectorIifN6thrust23THRUST_200600_302600_NS4plusIfEEEEZZNS1_33reduce_by_key_impl_wrapped_configILNS1_25lookback_scan_determinismE0ES3_S9_NS6_6detail15normal_iteratorINS6_10device_ptrIiEEEENSD_INSE_IfEEEESG_SI_PmS8_NS6_8equal_toIiEEEE10hipError_tPvRmT2_T3_mT4_T5_T6_T7_T8_P12ihipStream_tbENKUlT_T0_E_clISt17integral_constantIbLb1EES12_IbLb0EEEEDaSY_SZ_EUlSY_E_NS1_11comp_targetILNS1_3genE0ELNS1_11target_archE4294967295ELNS1_3gpuE0ELNS1_3repE0EEENS1_30default_config_static_selectorELNS0_4arch9wavefront6targetE0EEEvT1_,"axG",@progbits,_ZN7rocprim17ROCPRIM_400000_NS6detail17trampoline_kernelINS0_14default_configENS1_29reduce_by_key_config_selectorIifN6thrust23THRUST_200600_302600_NS4plusIfEEEEZZNS1_33reduce_by_key_impl_wrapped_configILNS1_25lookback_scan_determinismE0ES3_S9_NS6_6detail15normal_iteratorINS6_10device_ptrIiEEEENSD_INSE_IfEEEESG_SI_PmS8_NS6_8equal_toIiEEEE10hipError_tPvRmT2_T3_mT4_T5_T6_T7_T8_P12ihipStream_tbENKUlT_T0_E_clISt17integral_constantIbLb1EES12_IbLb0EEEEDaSY_SZ_EUlSY_E_NS1_11comp_targetILNS1_3genE0ELNS1_11target_archE4294967295ELNS1_3gpuE0ELNS1_3repE0EEENS1_30default_config_static_selectorELNS0_4arch9wavefront6targetE0EEEvT1_,comdat
	.protected	_ZN7rocprim17ROCPRIM_400000_NS6detail17trampoline_kernelINS0_14default_configENS1_29reduce_by_key_config_selectorIifN6thrust23THRUST_200600_302600_NS4plusIfEEEEZZNS1_33reduce_by_key_impl_wrapped_configILNS1_25lookback_scan_determinismE0ES3_S9_NS6_6detail15normal_iteratorINS6_10device_ptrIiEEEENSD_INSE_IfEEEESG_SI_PmS8_NS6_8equal_toIiEEEE10hipError_tPvRmT2_T3_mT4_T5_T6_T7_T8_P12ihipStream_tbENKUlT_T0_E_clISt17integral_constantIbLb1EES12_IbLb0EEEEDaSY_SZ_EUlSY_E_NS1_11comp_targetILNS1_3genE0ELNS1_11target_archE4294967295ELNS1_3gpuE0ELNS1_3repE0EEENS1_30default_config_static_selectorELNS0_4arch9wavefront6targetE0EEEvT1_ ; -- Begin function _ZN7rocprim17ROCPRIM_400000_NS6detail17trampoline_kernelINS0_14default_configENS1_29reduce_by_key_config_selectorIifN6thrust23THRUST_200600_302600_NS4plusIfEEEEZZNS1_33reduce_by_key_impl_wrapped_configILNS1_25lookback_scan_determinismE0ES3_S9_NS6_6detail15normal_iteratorINS6_10device_ptrIiEEEENSD_INSE_IfEEEESG_SI_PmS8_NS6_8equal_toIiEEEE10hipError_tPvRmT2_T3_mT4_T5_T6_T7_T8_P12ihipStream_tbENKUlT_T0_E_clISt17integral_constantIbLb1EES12_IbLb0EEEEDaSY_SZ_EUlSY_E_NS1_11comp_targetILNS1_3genE0ELNS1_11target_archE4294967295ELNS1_3gpuE0ELNS1_3repE0EEENS1_30default_config_static_selectorELNS0_4arch9wavefront6targetE0EEEvT1_
	.globl	_ZN7rocprim17ROCPRIM_400000_NS6detail17trampoline_kernelINS0_14default_configENS1_29reduce_by_key_config_selectorIifN6thrust23THRUST_200600_302600_NS4plusIfEEEEZZNS1_33reduce_by_key_impl_wrapped_configILNS1_25lookback_scan_determinismE0ES3_S9_NS6_6detail15normal_iteratorINS6_10device_ptrIiEEEENSD_INSE_IfEEEESG_SI_PmS8_NS6_8equal_toIiEEEE10hipError_tPvRmT2_T3_mT4_T5_T6_T7_T8_P12ihipStream_tbENKUlT_T0_E_clISt17integral_constantIbLb1EES12_IbLb0EEEEDaSY_SZ_EUlSY_E_NS1_11comp_targetILNS1_3genE0ELNS1_11target_archE4294967295ELNS1_3gpuE0ELNS1_3repE0EEENS1_30default_config_static_selectorELNS0_4arch9wavefront6targetE0EEEvT1_
	.p2align	8
	.type	_ZN7rocprim17ROCPRIM_400000_NS6detail17trampoline_kernelINS0_14default_configENS1_29reduce_by_key_config_selectorIifN6thrust23THRUST_200600_302600_NS4plusIfEEEEZZNS1_33reduce_by_key_impl_wrapped_configILNS1_25lookback_scan_determinismE0ES3_S9_NS6_6detail15normal_iteratorINS6_10device_ptrIiEEEENSD_INSE_IfEEEESG_SI_PmS8_NS6_8equal_toIiEEEE10hipError_tPvRmT2_T3_mT4_T5_T6_T7_T8_P12ihipStream_tbENKUlT_T0_E_clISt17integral_constantIbLb1EES12_IbLb0EEEEDaSY_SZ_EUlSY_E_NS1_11comp_targetILNS1_3genE0ELNS1_11target_archE4294967295ELNS1_3gpuE0ELNS1_3repE0EEENS1_30default_config_static_selectorELNS0_4arch9wavefront6targetE0EEEvT1_,@function
_ZN7rocprim17ROCPRIM_400000_NS6detail17trampoline_kernelINS0_14default_configENS1_29reduce_by_key_config_selectorIifN6thrust23THRUST_200600_302600_NS4plusIfEEEEZZNS1_33reduce_by_key_impl_wrapped_configILNS1_25lookback_scan_determinismE0ES3_S9_NS6_6detail15normal_iteratorINS6_10device_ptrIiEEEENSD_INSE_IfEEEESG_SI_PmS8_NS6_8equal_toIiEEEE10hipError_tPvRmT2_T3_mT4_T5_T6_T7_T8_P12ihipStream_tbENKUlT_T0_E_clISt17integral_constantIbLb1EES12_IbLb0EEEEDaSY_SZ_EUlSY_E_NS1_11comp_targetILNS1_3genE0ELNS1_11target_archE4294967295ELNS1_3gpuE0ELNS1_3repE0EEENS1_30default_config_static_selectorELNS0_4arch9wavefront6targetE0EEEvT1_: ; @_ZN7rocprim17ROCPRIM_400000_NS6detail17trampoline_kernelINS0_14default_configENS1_29reduce_by_key_config_selectorIifN6thrust23THRUST_200600_302600_NS4plusIfEEEEZZNS1_33reduce_by_key_impl_wrapped_configILNS1_25lookback_scan_determinismE0ES3_S9_NS6_6detail15normal_iteratorINS6_10device_ptrIiEEEENSD_INSE_IfEEEESG_SI_PmS8_NS6_8equal_toIiEEEE10hipError_tPvRmT2_T3_mT4_T5_T6_T7_T8_P12ihipStream_tbENKUlT_T0_E_clISt17integral_constantIbLb1EES12_IbLb0EEEEDaSY_SZ_EUlSY_E_NS1_11comp_targetILNS1_3genE0ELNS1_11target_archE4294967295ELNS1_3gpuE0ELNS1_3repE0EEENS1_30default_config_static_selectorELNS0_4arch9wavefront6targetE0EEEvT1_
; %bb.0:
	.section	.rodata,"a",@progbits
	.p2align	6, 0x0
	.amdhsa_kernel _ZN7rocprim17ROCPRIM_400000_NS6detail17trampoline_kernelINS0_14default_configENS1_29reduce_by_key_config_selectorIifN6thrust23THRUST_200600_302600_NS4plusIfEEEEZZNS1_33reduce_by_key_impl_wrapped_configILNS1_25lookback_scan_determinismE0ES3_S9_NS6_6detail15normal_iteratorINS6_10device_ptrIiEEEENSD_INSE_IfEEEESG_SI_PmS8_NS6_8equal_toIiEEEE10hipError_tPvRmT2_T3_mT4_T5_T6_T7_T8_P12ihipStream_tbENKUlT_T0_E_clISt17integral_constantIbLb1EES12_IbLb0EEEEDaSY_SZ_EUlSY_E_NS1_11comp_targetILNS1_3genE0ELNS1_11target_archE4294967295ELNS1_3gpuE0ELNS1_3repE0EEENS1_30default_config_static_selectorELNS0_4arch9wavefront6targetE0EEEvT1_
		.amdhsa_group_segment_fixed_size 0
		.amdhsa_private_segment_fixed_size 0
		.amdhsa_kernarg_size 120
		.amdhsa_user_sgpr_count 6
		.amdhsa_user_sgpr_private_segment_buffer 1
		.amdhsa_user_sgpr_dispatch_ptr 0
		.amdhsa_user_sgpr_queue_ptr 0
		.amdhsa_user_sgpr_kernarg_segment_ptr 1
		.amdhsa_user_sgpr_dispatch_id 0
		.amdhsa_user_sgpr_flat_scratch_init 0
		.amdhsa_user_sgpr_private_segment_size 0
		.amdhsa_wavefront_size32 1
		.amdhsa_uses_dynamic_stack 0
		.amdhsa_system_sgpr_private_segment_wavefront_offset 0
		.amdhsa_system_sgpr_workgroup_id_x 1
		.amdhsa_system_sgpr_workgroup_id_y 0
		.amdhsa_system_sgpr_workgroup_id_z 0
		.amdhsa_system_sgpr_workgroup_info 0
		.amdhsa_system_vgpr_workitem_id 0
		.amdhsa_next_free_vgpr 1
		.amdhsa_next_free_sgpr 1
		.amdhsa_reserve_vcc 0
		.amdhsa_reserve_flat_scratch 0
		.amdhsa_float_round_mode_32 0
		.amdhsa_float_round_mode_16_64 0
		.amdhsa_float_denorm_mode_32 3
		.amdhsa_float_denorm_mode_16_64 3
		.amdhsa_dx10_clamp 1
		.amdhsa_ieee_mode 1
		.amdhsa_fp16_overflow 0
		.amdhsa_workgroup_processor_mode 1
		.amdhsa_memory_ordered 1
		.amdhsa_forward_progress 1
		.amdhsa_shared_vgpr_count 0
		.amdhsa_exception_fp_ieee_invalid_op 0
		.amdhsa_exception_fp_denorm_src 0
		.amdhsa_exception_fp_ieee_div_zero 0
		.amdhsa_exception_fp_ieee_overflow 0
		.amdhsa_exception_fp_ieee_underflow 0
		.amdhsa_exception_fp_ieee_inexact 0
		.amdhsa_exception_int_div_zero 0
	.end_amdhsa_kernel
	.section	.text._ZN7rocprim17ROCPRIM_400000_NS6detail17trampoline_kernelINS0_14default_configENS1_29reduce_by_key_config_selectorIifN6thrust23THRUST_200600_302600_NS4plusIfEEEEZZNS1_33reduce_by_key_impl_wrapped_configILNS1_25lookback_scan_determinismE0ES3_S9_NS6_6detail15normal_iteratorINS6_10device_ptrIiEEEENSD_INSE_IfEEEESG_SI_PmS8_NS6_8equal_toIiEEEE10hipError_tPvRmT2_T3_mT4_T5_T6_T7_T8_P12ihipStream_tbENKUlT_T0_E_clISt17integral_constantIbLb1EES12_IbLb0EEEEDaSY_SZ_EUlSY_E_NS1_11comp_targetILNS1_3genE0ELNS1_11target_archE4294967295ELNS1_3gpuE0ELNS1_3repE0EEENS1_30default_config_static_selectorELNS0_4arch9wavefront6targetE0EEEvT1_,"axG",@progbits,_ZN7rocprim17ROCPRIM_400000_NS6detail17trampoline_kernelINS0_14default_configENS1_29reduce_by_key_config_selectorIifN6thrust23THRUST_200600_302600_NS4plusIfEEEEZZNS1_33reduce_by_key_impl_wrapped_configILNS1_25lookback_scan_determinismE0ES3_S9_NS6_6detail15normal_iteratorINS6_10device_ptrIiEEEENSD_INSE_IfEEEESG_SI_PmS8_NS6_8equal_toIiEEEE10hipError_tPvRmT2_T3_mT4_T5_T6_T7_T8_P12ihipStream_tbENKUlT_T0_E_clISt17integral_constantIbLb1EES12_IbLb0EEEEDaSY_SZ_EUlSY_E_NS1_11comp_targetILNS1_3genE0ELNS1_11target_archE4294967295ELNS1_3gpuE0ELNS1_3repE0EEENS1_30default_config_static_selectorELNS0_4arch9wavefront6targetE0EEEvT1_,comdat
.Lfunc_end86:
	.size	_ZN7rocprim17ROCPRIM_400000_NS6detail17trampoline_kernelINS0_14default_configENS1_29reduce_by_key_config_selectorIifN6thrust23THRUST_200600_302600_NS4plusIfEEEEZZNS1_33reduce_by_key_impl_wrapped_configILNS1_25lookback_scan_determinismE0ES3_S9_NS6_6detail15normal_iteratorINS6_10device_ptrIiEEEENSD_INSE_IfEEEESG_SI_PmS8_NS6_8equal_toIiEEEE10hipError_tPvRmT2_T3_mT4_T5_T6_T7_T8_P12ihipStream_tbENKUlT_T0_E_clISt17integral_constantIbLb1EES12_IbLb0EEEEDaSY_SZ_EUlSY_E_NS1_11comp_targetILNS1_3genE0ELNS1_11target_archE4294967295ELNS1_3gpuE0ELNS1_3repE0EEENS1_30default_config_static_selectorELNS0_4arch9wavefront6targetE0EEEvT1_, .Lfunc_end86-_ZN7rocprim17ROCPRIM_400000_NS6detail17trampoline_kernelINS0_14default_configENS1_29reduce_by_key_config_selectorIifN6thrust23THRUST_200600_302600_NS4plusIfEEEEZZNS1_33reduce_by_key_impl_wrapped_configILNS1_25lookback_scan_determinismE0ES3_S9_NS6_6detail15normal_iteratorINS6_10device_ptrIiEEEENSD_INSE_IfEEEESG_SI_PmS8_NS6_8equal_toIiEEEE10hipError_tPvRmT2_T3_mT4_T5_T6_T7_T8_P12ihipStream_tbENKUlT_T0_E_clISt17integral_constantIbLb1EES12_IbLb0EEEEDaSY_SZ_EUlSY_E_NS1_11comp_targetILNS1_3genE0ELNS1_11target_archE4294967295ELNS1_3gpuE0ELNS1_3repE0EEENS1_30default_config_static_selectorELNS0_4arch9wavefront6targetE0EEEvT1_
                                        ; -- End function
	.set _ZN7rocprim17ROCPRIM_400000_NS6detail17trampoline_kernelINS0_14default_configENS1_29reduce_by_key_config_selectorIifN6thrust23THRUST_200600_302600_NS4plusIfEEEEZZNS1_33reduce_by_key_impl_wrapped_configILNS1_25lookback_scan_determinismE0ES3_S9_NS6_6detail15normal_iteratorINS6_10device_ptrIiEEEENSD_INSE_IfEEEESG_SI_PmS8_NS6_8equal_toIiEEEE10hipError_tPvRmT2_T3_mT4_T5_T6_T7_T8_P12ihipStream_tbENKUlT_T0_E_clISt17integral_constantIbLb1EES12_IbLb0EEEEDaSY_SZ_EUlSY_E_NS1_11comp_targetILNS1_3genE0ELNS1_11target_archE4294967295ELNS1_3gpuE0ELNS1_3repE0EEENS1_30default_config_static_selectorELNS0_4arch9wavefront6targetE0EEEvT1_.num_vgpr, 0
	.set _ZN7rocprim17ROCPRIM_400000_NS6detail17trampoline_kernelINS0_14default_configENS1_29reduce_by_key_config_selectorIifN6thrust23THRUST_200600_302600_NS4plusIfEEEEZZNS1_33reduce_by_key_impl_wrapped_configILNS1_25lookback_scan_determinismE0ES3_S9_NS6_6detail15normal_iteratorINS6_10device_ptrIiEEEENSD_INSE_IfEEEESG_SI_PmS8_NS6_8equal_toIiEEEE10hipError_tPvRmT2_T3_mT4_T5_T6_T7_T8_P12ihipStream_tbENKUlT_T0_E_clISt17integral_constantIbLb1EES12_IbLb0EEEEDaSY_SZ_EUlSY_E_NS1_11comp_targetILNS1_3genE0ELNS1_11target_archE4294967295ELNS1_3gpuE0ELNS1_3repE0EEENS1_30default_config_static_selectorELNS0_4arch9wavefront6targetE0EEEvT1_.num_agpr, 0
	.set _ZN7rocprim17ROCPRIM_400000_NS6detail17trampoline_kernelINS0_14default_configENS1_29reduce_by_key_config_selectorIifN6thrust23THRUST_200600_302600_NS4plusIfEEEEZZNS1_33reduce_by_key_impl_wrapped_configILNS1_25lookback_scan_determinismE0ES3_S9_NS6_6detail15normal_iteratorINS6_10device_ptrIiEEEENSD_INSE_IfEEEESG_SI_PmS8_NS6_8equal_toIiEEEE10hipError_tPvRmT2_T3_mT4_T5_T6_T7_T8_P12ihipStream_tbENKUlT_T0_E_clISt17integral_constantIbLb1EES12_IbLb0EEEEDaSY_SZ_EUlSY_E_NS1_11comp_targetILNS1_3genE0ELNS1_11target_archE4294967295ELNS1_3gpuE0ELNS1_3repE0EEENS1_30default_config_static_selectorELNS0_4arch9wavefront6targetE0EEEvT1_.numbered_sgpr, 0
	.set _ZN7rocprim17ROCPRIM_400000_NS6detail17trampoline_kernelINS0_14default_configENS1_29reduce_by_key_config_selectorIifN6thrust23THRUST_200600_302600_NS4plusIfEEEEZZNS1_33reduce_by_key_impl_wrapped_configILNS1_25lookback_scan_determinismE0ES3_S9_NS6_6detail15normal_iteratorINS6_10device_ptrIiEEEENSD_INSE_IfEEEESG_SI_PmS8_NS6_8equal_toIiEEEE10hipError_tPvRmT2_T3_mT4_T5_T6_T7_T8_P12ihipStream_tbENKUlT_T0_E_clISt17integral_constantIbLb1EES12_IbLb0EEEEDaSY_SZ_EUlSY_E_NS1_11comp_targetILNS1_3genE0ELNS1_11target_archE4294967295ELNS1_3gpuE0ELNS1_3repE0EEENS1_30default_config_static_selectorELNS0_4arch9wavefront6targetE0EEEvT1_.num_named_barrier, 0
	.set _ZN7rocprim17ROCPRIM_400000_NS6detail17trampoline_kernelINS0_14default_configENS1_29reduce_by_key_config_selectorIifN6thrust23THRUST_200600_302600_NS4plusIfEEEEZZNS1_33reduce_by_key_impl_wrapped_configILNS1_25lookback_scan_determinismE0ES3_S9_NS6_6detail15normal_iteratorINS6_10device_ptrIiEEEENSD_INSE_IfEEEESG_SI_PmS8_NS6_8equal_toIiEEEE10hipError_tPvRmT2_T3_mT4_T5_T6_T7_T8_P12ihipStream_tbENKUlT_T0_E_clISt17integral_constantIbLb1EES12_IbLb0EEEEDaSY_SZ_EUlSY_E_NS1_11comp_targetILNS1_3genE0ELNS1_11target_archE4294967295ELNS1_3gpuE0ELNS1_3repE0EEENS1_30default_config_static_selectorELNS0_4arch9wavefront6targetE0EEEvT1_.private_seg_size, 0
	.set _ZN7rocprim17ROCPRIM_400000_NS6detail17trampoline_kernelINS0_14default_configENS1_29reduce_by_key_config_selectorIifN6thrust23THRUST_200600_302600_NS4plusIfEEEEZZNS1_33reduce_by_key_impl_wrapped_configILNS1_25lookback_scan_determinismE0ES3_S9_NS6_6detail15normal_iteratorINS6_10device_ptrIiEEEENSD_INSE_IfEEEESG_SI_PmS8_NS6_8equal_toIiEEEE10hipError_tPvRmT2_T3_mT4_T5_T6_T7_T8_P12ihipStream_tbENKUlT_T0_E_clISt17integral_constantIbLb1EES12_IbLb0EEEEDaSY_SZ_EUlSY_E_NS1_11comp_targetILNS1_3genE0ELNS1_11target_archE4294967295ELNS1_3gpuE0ELNS1_3repE0EEENS1_30default_config_static_selectorELNS0_4arch9wavefront6targetE0EEEvT1_.uses_vcc, 0
	.set _ZN7rocprim17ROCPRIM_400000_NS6detail17trampoline_kernelINS0_14default_configENS1_29reduce_by_key_config_selectorIifN6thrust23THRUST_200600_302600_NS4plusIfEEEEZZNS1_33reduce_by_key_impl_wrapped_configILNS1_25lookback_scan_determinismE0ES3_S9_NS6_6detail15normal_iteratorINS6_10device_ptrIiEEEENSD_INSE_IfEEEESG_SI_PmS8_NS6_8equal_toIiEEEE10hipError_tPvRmT2_T3_mT4_T5_T6_T7_T8_P12ihipStream_tbENKUlT_T0_E_clISt17integral_constantIbLb1EES12_IbLb0EEEEDaSY_SZ_EUlSY_E_NS1_11comp_targetILNS1_3genE0ELNS1_11target_archE4294967295ELNS1_3gpuE0ELNS1_3repE0EEENS1_30default_config_static_selectorELNS0_4arch9wavefront6targetE0EEEvT1_.uses_flat_scratch, 0
	.set _ZN7rocprim17ROCPRIM_400000_NS6detail17trampoline_kernelINS0_14default_configENS1_29reduce_by_key_config_selectorIifN6thrust23THRUST_200600_302600_NS4plusIfEEEEZZNS1_33reduce_by_key_impl_wrapped_configILNS1_25lookback_scan_determinismE0ES3_S9_NS6_6detail15normal_iteratorINS6_10device_ptrIiEEEENSD_INSE_IfEEEESG_SI_PmS8_NS6_8equal_toIiEEEE10hipError_tPvRmT2_T3_mT4_T5_T6_T7_T8_P12ihipStream_tbENKUlT_T0_E_clISt17integral_constantIbLb1EES12_IbLb0EEEEDaSY_SZ_EUlSY_E_NS1_11comp_targetILNS1_3genE0ELNS1_11target_archE4294967295ELNS1_3gpuE0ELNS1_3repE0EEENS1_30default_config_static_selectorELNS0_4arch9wavefront6targetE0EEEvT1_.has_dyn_sized_stack, 0
	.set _ZN7rocprim17ROCPRIM_400000_NS6detail17trampoline_kernelINS0_14default_configENS1_29reduce_by_key_config_selectorIifN6thrust23THRUST_200600_302600_NS4plusIfEEEEZZNS1_33reduce_by_key_impl_wrapped_configILNS1_25lookback_scan_determinismE0ES3_S9_NS6_6detail15normal_iteratorINS6_10device_ptrIiEEEENSD_INSE_IfEEEESG_SI_PmS8_NS6_8equal_toIiEEEE10hipError_tPvRmT2_T3_mT4_T5_T6_T7_T8_P12ihipStream_tbENKUlT_T0_E_clISt17integral_constantIbLb1EES12_IbLb0EEEEDaSY_SZ_EUlSY_E_NS1_11comp_targetILNS1_3genE0ELNS1_11target_archE4294967295ELNS1_3gpuE0ELNS1_3repE0EEENS1_30default_config_static_selectorELNS0_4arch9wavefront6targetE0EEEvT1_.has_recursion, 0
	.set _ZN7rocprim17ROCPRIM_400000_NS6detail17trampoline_kernelINS0_14default_configENS1_29reduce_by_key_config_selectorIifN6thrust23THRUST_200600_302600_NS4plusIfEEEEZZNS1_33reduce_by_key_impl_wrapped_configILNS1_25lookback_scan_determinismE0ES3_S9_NS6_6detail15normal_iteratorINS6_10device_ptrIiEEEENSD_INSE_IfEEEESG_SI_PmS8_NS6_8equal_toIiEEEE10hipError_tPvRmT2_T3_mT4_T5_T6_T7_T8_P12ihipStream_tbENKUlT_T0_E_clISt17integral_constantIbLb1EES12_IbLb0EEEEDaSY_SZ_EUlSY_E_NS1_11comp_targetILNS1_3genE0ELNS1_11target_archE4294967295ELNS1_3gpuE0ELNS1_3repE0EEENS1_30default_config_static_selectorELNS0_4arch9wavefront6targetE0EEEvT1_.has_indirect_call, 0
	.section	.AMDGPU.csdata,"",@progbits
; Kernel info:
; codeLenInByte = 0
; TotalNumSgprs: 0
; NumVgprs: 0
; ScratchSize: 0
; MemoryBound: 0
; FloatMode: 240
; IeeeMode: 1
; LDSByteSize: 0 bytes/workgroup (compile time only)
; SGPRBlocks: 0
; VGPRBlocks: 0
; NumSGPRsForWavesPerEU: 1
; NumVGPRsForWavesPerEU: 1
; Occupancy: 16
; WaveLimiterHint : 0
; COMPUTE_PGM_RSRC2:SCRATCH_EN: 0
; COMPUTE_PGM_RSRC2:USER_SGPR: 6
; COMPUTE_PGM_RSRC2:TRAP_HANDLER: 0
; COMPUTE_PGM_RSRC2:TGID_X_EN: 1
; COMPUTE_PGM_RSRC2:TGID_Y_EN: 0
; COMPUTE_PGM_RSRC2:TGID_Z_EN: 0
; COMPUTE_PGM_RSRC2:TIDIG_COMP_CNT: 0
	.section	.text._ZN7rocprim17ROCPRIM_400000_NS6detail17trampoline_kernelINS0_14default_configENS1_29reduce_by_key_config_selectorIifN6thrust23THRUST_200600_302600_NS4plusIfEEEEZZNS1_33reduce_by_key_impl_wrapped_configILNS1_25lookback_scan_determinismE0ES3_S9_NS6_6detail15normal_iteratorINS6_10device_ptrIiEEEENSD_INSE_IfEEEESG_SI_PmS8_NS6_8equal_toIiEEEE10hipError_tPvRmT2_T3_mT4_T5_T6_T7_T8_P12ihipStream_tbENKUlT_T0_E_clISt17integral_constantIbLb1EES12_IbLb0EEEEDaSY_SZ_EUlSY_E_NS1_11comp_targetILNS1_3genE5ELNS1_11target_archE942ELNS1_3gpuE9ELNS1_3repE0EEENS1_30default_config_static_selectorELNS0_4arch9wavefront6targetE0EEEvT1_,"axG",@progbits,_ZN7rocprim17ROCPRIM_400000_NS6detail17trampoline_kernelINS0_14default_configENS1_29reduce_by_key_config_selectorIifN6thrust23THRUST_200600_302600_NS4plusIfEEEEZZNS1_33reduce_by_key_impl_wrapped_configILNS1_25lookback_scan_determinismE0ES3_S9_NS6_6detail15normal_iteratorINS6_10device_ptrIiEEEENSD_INSE_IfEEEESG_SI_PmS8_NS6_8equal_toIiEEEE10hipError_tPvRmT2_T3_mT4_T5_T6_T7_T8_P12ihipStream_tbENKUlT_T0_E_clISt17integral_constantIbLb1EES12_IbLb0EEEEDaSY_SZ_EUlSY_E_NS1_11comp_targetILNS1_3genE5ELNS1_11target_archE942ELNS1_3gpuE9ELNS1_3repE0EEENS1_30default_config_static_selectorELNS0_4arch9wavefront6targetE0EEEvT1_,comdat
	.protected	_ZN7rocprim17ROCPRIM_400000_NS6detail17trampoline_kernelINS0_14default_configENS1_29reduce_by_key_config_selectorIifN6thrust23THRUST_200600_302600_NS4plusIfEEEEZZNS1_33reduce_by_key_impl_wrapped_configILNS1_25lookback_scan_determinismE0ES3_S9_NS6_6detail15normal_iteratorINS6_10device_ptrIiEEEENSD_INSE_IfEEEESG_SI_PmS8_NS6_8equal_toIiEEEE10hipError_tPvRmT2_T3_mT4_T5_T6_T7_T8_P12ihipStream_tbENKUlT_T0_E_clISt17integral_constantIbLb1EES12_IbLb0EEEEDaSY_SZ_EUlSY_E_NS1_11comp_targetILNS1_3genE5ELNS1_11target_archE942ELNS1_3gpuE9ELNS1_3repE0EEENS1_30default_config_static_selectorELNS0_4arch9wavefront6targetE0EEEvT1_ ; -- Begin function _ZN7rocprim17ROCPRIM_400000_NS6detail17trampoline_kernelINS0_14default_configENS1_29reduce_by_key_config_selectorIifN6thrust23THRUST_200600_302600_NS4plusIfEEEEZZNS1_33reduce_by_key_impl_wrapped_configILNS1_25lookback_scan_determinismE0ES3_S9_NS6_6detail15normal_iteratorINS6_10device_ptrIiEEEENSD_INSE_IfEEEESG_SI_PmS8_NS6_8equal_toIiEEEE10hipError_tPvRmT2_T3_mT4_T5_T6_T7_T8_P12ihipStream_tbENKUlT_T0_E_clISt17integral_constantIbLb1EES12_IbLb0EEEEDaSY_SZ_EUlSY_E_NS1_11comp_targetILNS1_3genE5ELNS1_11target_archE942ELNS1_3gpuE9ELNS1_3repE0EEENS1_30default_config_static_selectorELNS0_4arch9wavefront6targetE0EEEvT1_
	.globl	_ZN7rocprim17ROCPRIM_400000_NS6detail17trampoline_kernelINS0_14default_configENS1_29reduce_by_key_config_selectorIifN6thrust23THRUST_200600_302600_NS4plusIfEEEEZZNS1_33reduce_by_key_impl_wrapped_configILNS1_25lookback_scan_determinismE0ES3_S9_NS6_6detail15normal_iteratorINS6_10device_ptrIiEEEENSD_INSE_IfEEEESG_SI_PmS8_NS6_8equal_toIiEEEE10hipError_tPvRmT2_T3_mT4_T5_T6_T7_T8_P12ihipStream_tbENKUlT_T0_E_clISt17integral_constantIbLb1EES12_IbLb0EEEEDaSY_SZ_EUlSY_E_NS1_11comp_targetILNS1_3genE5ELNS1_11target_archE942ELNS1_3gpuE9ELNS1_3repE0EEENS1_30default_config_static_selectorELNS0_4arch9wavefront6targetE0EEEvT1_
	.p2align	8
	.type	_ZN7rocprim17ROCPRIM_400000_NS6detail17trampoline_kernelINS0_14default_configENS1_29reduce_by_key_config_selectorIifN6thrust23THRUST_200600_302600_NS4plusIfEEEEZZNS1_33reduce_by_key_impl_wrapped_configILNS1_25lookback_scan_determinismE0ES3_S9_NS6_6detail15normal_iteratorINS6_10device_ptrIiEEEENSD_INSE_IfEEEESG_SI_PmS8_NS6_8equal_toIiEEEE10hipError_tPvRmT2_T3_mT4_T5_T6_T7_T8_P12ihipStream_tbENKUlT_T0_E_clISt17integral_constantIbLb1EES12_IbLb0EEEEDaSY_SZ_EUlSY_E_NS1_11comp_targetILNS1_3genE5ELNS1_11target_archE942ELNS1_3gpuE9ELNS1_3repE0EEENS1_30default_config_static_selectorELNS0_4arch9wavefront6targetE0EEEvT1_,@function
_ZN7rocprim17ROCPRIM_400000_NS6detail17trampoline_kernelINS0_14default_configENS1_29reduce_by_key_config_selectorIifN6thrust23THRUST_200600_302600_NS4plusIfEEEEZZNS1_33reduce_by_key_impl_wrapped_configILNS1_25lookback_scan_determinismE0ES3_S9_NS6_6detail15normal_iteratorINS6_10device_ptrIiEEEENSD_INSE_IfEEEESG_SI_PmS8_NS6_8equal_toIiEEEE10hipError_tPvRmT2_T3_mT4_T5_T6_T7_T8_P12ihipStream_tbENKUlT_T0_E_clISt17integral_constantIbLb1EES12_IbLb0EEEEDaSY_SZ_EUlSY_E_NS1_11comp_targetILNS1_3genE5ELNS1_11target_archE942ELNS1_3gpuE9ELNS1_3repE0EEENS1_30default_config_static_selectorELNS0_4arch9wavefront6targetE0EEEvT1_: ; @_ZN7rocprim17ROCPRIM_400000_NS6detail17trampoline_kernelINS0_14default_configENS1_29reduce_by_key_config_selectorIifN6thrust23THRUST_200600_302600_NS4plusIfEEEEZZNS1_33reduce_by_key_impl_wrapped_configILNS1_25lookback_scan_determinismE0ES3_S9_NS6_6detail15normal_iteratorINS6_10device_ptrIiEEEENSD_INSE_IfEEEESG_SI_PmS8_NS6_8equal_toIiEEEE10hipError_tPvRmT2_T3_mT4_T5_T6_T7_T8_P12ihipStream_tbENKUlT_T0_E_clISt17integral_constantIbLb1EES12_IbLb0EEEEDaSY_SZ_EUlSY_E_NS1_11comp_targetILNS1_3genE5ELNS1_11target_archE942ELNS1_3gpuE9ELNS1_3repE0EEENS1_30default_config_static_selectorELNS0_4arch9wavefront6targetE0EEEvT1_
; %bb.0:
	.section	.rodata,"a",@progbits
	.p2align	6, 0x0
	.amdhsa_kernel _ZN7rocprim17ROCPRIM_400000_NS6detail17trampoline_kernelINS0_14default_configENS1_29reduce_by_key_config_selectorIifN6thrust23THRUST_200600_302600_NS4plusIfEEEEZZNS1_33reduce_by_key_impl_wrapped_configILNS1_25lookback_scan_determinismE0ES3_S9_NS6_6detail15normal_iteratorINS6_10device_ptrIiEEEENSD_INSE_IfEEEESG_SI_PmS8_NS6_8equal_toIiEEEE10hipError_tPvRmT2_T3_mT4_T5_T6_T7_T8_P12ihipStream_tbENKUlT_T0_E_clISt17integral_constantIbLb1EES12_IbLb0EEEEDaSY_SZ_EUlSY_E_NS1_11comp_targetILNS1_3genE5ELNS1_11target_archE942ELNS1_3gpuE9ELNS1_3repE0EEENS1_30default_config_static_selectorELNS0_4arch9wavefront6targetE0EEEvT1_
		.amdhsa_group_segment_fixed_size 0
		.amdhsa_private_segment_fixed_size 0
		.amdhsa_kernarg_size 120
		.amdhsa_user_sgpr_count 6
		.amdhsa_user_sgpr_private_segment_buffer 1
		.amdhsa_user_sgpr_dispatch_ptr 0
		.amdhsa_user_sgpr_queue_ptr 0
		.amdhsa_user_sgpr_kernarg_segment_ptr 1
		.amdhsa_user_sgpr_dispatch_id 0
		.amdhsa_user_sgpr_flat_scratch_init 0
		.amdhsa_user_sgpr_private_segment_size 0
		.amdhsa_wavefront_size32 1
		.amdhsa_uses_dynamic_stack 0
		.amdhsa_system_sgpr_private_segment_wavefront_offset 0
		.amdhsa_system_sgpr_workgroup_id_x 1
		.amdhsa_system_sgpr_workgroup_id_y 0
		.amdhsa_system_sgpr_workgroup_id_z 0
		.amdhsa_system_sgpr_workgroup_info 0
		.amdhsa_system_vgpr_workitem_id 0
		.amdhsa_next_free_vgpr 1
		.amdhsa_next_free_sgpr 1
		.amdhsa_reserve_vcc 0
		.amdhsa_reserve_flat_scratch 0
		.amdhsa_float_round_mode_32 0
		.amdhsa_float_round_mode_16_64 0
		.amdhsa_float_denorm_mode_32 3
		.amdhsa_float_denorm_mode_16_64 3
		.amdhsa_dx10_clamp 1
		.amdhsa_ieee_mode 1
		.amdhsa_fp16_overflow 0
		.amdhsa_workgroup_processor_mode 1
		.amdhsa_memory_ordered 1
		.amdhsa_forward_progress 1
		.amdhsa_shared_vgpr_count 0
		.amdhsa_exception_fp_ieee_invalid_op 0
		.amdhsa_exception_fp_denorm_src 0
		.amdhsa_exception_fp_ieee_div_zero 0
		.amdhsa_exception_fp_ieee_overflow 0
		.amdhsa_exception_fp_ieee_underflow 0
		.amdhsa_exception_fp_ieee_inexact 0
		.amdhsa_exception_int_div_zero 0
	.end_amdhsa_kernel
	.section	.text._ZN7rocprim17ROCPRIM_400000_NS6detail17trampoline_kernelINS0_14default_configENS1_29reduce_by_key_config_selectorIifN6thrust23THRUST_200600_302600_NS4plusIfEEEEZZNS1_33reduce_by_key_impl_wrapped_configILNS1_25lookback_scan_determinismE0ES3_S9_NS6_6detail15normal_iteratorINS6_10device_ptrIiEEEENSD_INSE_IfEEEESG_SI_PmS8_NS6_8equal_toIiEEEE10hipError_tPvRmT2_T3_mT4_T5_T6_T7_T8_P12ihipStream_tbENKUlT_T0_E_clISt17integral_constantIbLb1EES12_IbLb0EEEEDaSY_SZ_EUlSY_E_NS1_11comp_targetILNS1_3genE5ELNS1_11target_archE942ELNS1_3gpuE9ELNS1_3repE0EEENS1_30default_config_static_selectorELNS0_4arch9wavefront6targetE0EEEvT1_,"axG",@progbits,_ZN7rocprim17ROCPRIM_400000_NS6detail17trampoline_kernelINS0_14default_configENS1_29reduce_by_key_config_selectorIifN6thrust23THRUST_200600_302600_NS4plusIfEEEEZZNS1_33reduce_by_key_impl_wrapped_configILNS1_25lookback_scan_determinismE0ES3_S9_NS6_6detail15normal_iteratorINS6_10device_ptrIiEEEENSD_INSE_IfEEEESG_SI_PmS8_NS6_8equal_toIiEEEE10hipError_tPvRmT2_T3_mT4_T5_T6_T7_T8_P12ihipStream_tbENKUlT_T0_E_clISt17integral_constantIbLb1EES12_IbLb0EEEEDaSY_SZ_EUlSY_E_NS1_11comp_targetILNS1_3genE5ELNS1_11target_archE942ELNS1_3gpuE9ELNS1_3repE0EEENS1_30default_config_static_selectorELNS0_4arch9wavefront6targetE0EEEvT1_,comdat
.Lfunc_end87:
	.size	_ZN7rocprim17ROCPRIM_400000_NS6detail17trampoline_kernelINS0_14default_configENS1_29reduce_by_key_config_selectorIifN6thrust23THRUST_200600_302600_NS4plusIfEEEEZZNS1_33reduce_by_key_impl_wrapped_configILNS1_25lookback_scan_determinismE0ES3_S9_NS6_6detail15normal_iteratorINS6_10device_ptrIiEEEENSD_INSE_IfEEEESG_SI_PmS8_NS6_8equal_toIiEEEE10hipError_tPvRmT2_T3_mT4_T5_T6_T7_T8_P12ihipStream_tbENKUlT_T0_E_clISt17integral_constantIbLb1EES12_IbLb0EEEEDaSY_SZ_EUlSY_E_NS1_11comp_targetILNS1_3genE5ELNS1_11target_archE942ELNS1_3gpuE9ELNS1_3repE0EEENS1_30default_config_static_selectorELNS0_4arch9wavefront6targetE0EEEvT1_, .Lfunc_end87-_ZN7rocprim17ROCPRIM_400000_NS6detail17trampoline_kernelINS0_14default_configENS1_29reduce_by_key_config_selectorIifN6thrust23THRUST_200600_302600_NS4plusIfEEEEZZNS1_33reduce_by_key_impl_wrapped_configILNS1_25lookback_scan_determinismE0ES3_S9_NS6_6detail15normal_iteratorINS6_10device_ptrIiEEEENSD_INSE_IfEEEESG_SI_PmS8_NS6_8equal_toIiEEEE10hipError_tPvRmT2_T3_mT4_T5_T6_T7_T8_P12ihipStream_tbENKUlT_T0_E_clISt17integral_constantIbLb1EES12_IbLb0EEEEDaSY_SZ_EUlSY_E_NS1_11comp_targetILNS1_3genE5ELNS1_11target_archE942ELNS1_3gpuE9ELNS1_3repE0EEENS1_30default_config_static_selectorELNS0_4arch9wavefront6targetE0EEEvT1_
                                        ; -- End function
	.set _ZN7rocprim17ROCPRIM_400000_NS6detail17trampoline_kernelINS0_14default_configENS1_29reduce_by_key_config_selectorIifN6thrust23THRUST_200600_302600_NS4plusIfEEEEZZNS1_33reduce_by_key_impl_wrapped_configILNS1_25lookback_scan_determinismE0ES3_S9_NS6_6detail15normal_iteratorINS6_10device_ptrIiEEEENSD_INSE_IfEEEESG_SI_PmS8_NS6_8equal_toIiEEEE10hipError_tPvRmT2_T3_mT4_T5_T6_T7_T8_P12ihipStream_tbENKUlT_T0_E_clISt17integral_constantIbLb1EES12_IbLb0EEEEDaSY_SZ_EUlSY_E_NS1_11comp_targetILNS1_3genE5ELNS1_11target_archE942ELNS1_3gpuE9ELNS1_3repE0EEENS1_30default_config_static_selectorELNS0_4arch9wavefront6targetE0EEEvT1_.num_vgpr, 0
	.set _ZN7rocprim17ROCPRIM_400000_NS6detail17trampoline_kernelINS0_14default_configENS1_29reduce_by_key_config_selectorIifN6thrust23THRUST_200600_302600_NS4plusIfEEEEZZNS1_33reduce_by_key_impl_wrapped_configILNS1_25lookback_scan_determinismE0ES3_S9_NS6_6detail15normal_iteratorINS6_10device_ptrIiEEEENSD_INSE_IfEEEESG_SI_PmS8_NS6_8equal_toIiEEEE10hipError_tPvRmT2_T3_mT4_T5_T6_T7_T8_P12ihipStream_tbENKUlT_T0_E_clISt17integral_constantIbLb1EES12_IbLb0EEEEDaSY_SZ_EUlSY_E_NS1_11comp_targetILNS1_3genE5ELNS1_11target_archE942ELNS1_3gpuE9ELNS1_3repE0EEENS1_30default_config_static_selectorELNS0_4arch9wavefront6targetE0EEEvT1_.num_agpr, 0
	.set _ZN7rocprim17ROCPRIM_400000_NS6detail17trampoline_kernelINS0_14default_configENS1_29reduce_by_key_config_selectorIifN6thrust23THRUST_200600_302600_NS4plusIfEEEEZZNS1_33reduce_by_key_impl_wrapped_configILNS1_25lookback_scan_determinismE0ES3_S9_NS6_6detail15normal_iteratorINS6_10device_ptrIiEEEENSD_INSE_IfEEEESG_SI_PmS8_NS6_8equal_toIiEEEE10hipError_tPvRmT2_T3_mT4_T5_T6_T7_T8_P12ihipStream_tbENKUlT_T0_E_clISt17integral_constantIbLb1EES12_IbLb0EEEEDaSY_SZ_EUlSY_E_NS1_11comp_targetILNS1_3genE5ELNS1_11target_archE942ELNS1_3gpuE9ELNS1_3repE0EEENS1_30default_config_static_selectorELNS0_4arch9wavefront6targetE0EEEvT1_.numbered_sgpr, 0
	.set _ZN7rocprim17ROCPRIM_400000_NS6detail17trampoline_kernelINS0_14default_configENS1_29reduce_by_key_config_selectorIifN6thrust23THRUST_200600_302600_NS4plusIfEEEEZZNS1_33reduce_by_key_impl_wrapped_configILNS1_25lookback_scan_determinismE0ES3_S9_NS6_6detail15normal_iteratorINS6_10device_ptrIiEEEENSD_INSE_IfEEEESG_SI_PmS8_NS6_8equal_toIiEEEE10hipError_tPvRmT2_T3_mT4_T5_T6_T7_T8_P12ihipStream_tbENKUlT_T0_E_clISt17integral_constantIbLb1EES12_IbLb0EEEEDaSY_SZ_EUlSY_E_NS1_11comp_targetILNS1_3genE5ELNS1_11target_archE942ELNS1_3gpuE9ELNS1_3repE0EEENS1_30default_config_static_selectorELNS0_4arch9wavefront6targetE0EEEvT1_.num_named_barrier, 0
	.set _ZN7rocprim17ROCPRIM_400000_NS6detail17trampoline_kernelINS0_14default_configENS1_29reduce_by_key_config_selectorIifN6thrust23THRUST_200600_302600_NS4plusIfEEEEZZNS1_33reduce_by_key_impl_wrapped_configILNS1_25lookback_scan_determinismE0ES3_S9_NS6_6detail15normal_iteratorINS6_10device_ptrIiEEEENSD_INSE_IfEEEESG_SI_PmS8_NS6_8equal_toIiEEEE10hipError_tPvRmT2_T3_mT4_T5_T6_T7_T8_P12ihipStream_tbENKUlT_T0_E_clISt17integral_constantIbLb1EES12_IbLb0EEEEDaSY_SZ_EUlSY_E_NS1_11comp_targetILNS1_3genE5ELNS1_11target_archE942ELNS1_3gpuE9ELNS1_3repE0EEENS1_30default_config_static_selectorELNS0_4arch9wavefront6targetE0EEEvT1_.private_seg_size, 0
	.set _ZN7rocprim17ROCPRIM_400000_NS6detail17trampoline_kernelINS0_14default_configENS1_29reduce_by_key_config_selectorIifN6thrust23THRUST_200600_302600_NS4plusIfEEEEZZNS1_33reduce_by_key_impl_wrapped_configILNS1_25lookback_scan_determinismE0ES3_S9_NS6_6detail15normal_iteratorINS6_10device_ptrIiEEEENSD_INSE_IfEEEESG_SI_PmS8_NS6_8equal_toIiEEEE10hipError_tPvRmT2_T3_mT4_T5_T6_T7_T8_P12ihipStream_tbENKUlT_T0_E_clISt17integral_constantIbLb1EES12_IbLb0EEEEDaSY_SZ_EUlSY_E_NS1_11comp_targetILNS1_3genE5ELNS1_11target_archE942ELNS1_3gpuE9ELNS1_3repE0EEENS1_30default_config_static_selectorELNS0_4arch9wavefront6targetE0EEEvT1_.uses_vcc, 0
	.set _ZN7rocprim17ROCPRIM_400000_NS6detail17trampoline_kernelINS0_14default_configENS1_29reduce_by_key_config_selectorIifN6thrust23THRUST_200600_302600_NS4plusIfEEEEZZNS1_33reduce_by_key_impl_wrapped_configILNS1_25lookback_scan_determinismE0ES3_S9_NS6_6detail15normal_iteratorINS6_10device_ptrIiEEEENSD_INSE_IfEEEESG_SI_PmS8_NS6_8equal_toIiEEEE10hipError_tPvRmT2_T3_mT4_T5_T6_T7_T8_P12ihipStream_tbENKUlT_T0_E_clISt17integral_constantIbLb1EES12_IbLb0EEEEDaSY_SZ_EUlSY_E_NS1_11comp_targetILNS1_3genE5ELNS1_11target_archE942ELNS1_3gpuE9ELNS1_3repE0EEENS1_30default_config_static_selectorELNS0_4arch9wavefront6targetE0EEEvT1_.uses_flat_scratch, 0
	.set _ZN7rocprim17ROCPRIM_400000_NS6detail17trampoline_kernelINS0_14default_configENS1_29reduce_by_key_config_selectorIifN6thrust23THRUST_200600_302600_NS4plusIfEEEEZZNS1_33reduce_by_key_impl_wrapped_configILNS1_25lookback_scan_determinismE0ES3_S9_NS6_6detail15normal_iteratorINS6_10device_ptrIiEEEENSD_INSE_IfEEEESG_SI_PmS8_NS6_8equal_toIiEEEE10hipError_tPvRmT2_T3_mT4_T5_T6_T7_T8_P12ihipStream_tbENKUlT_T0_E_clISt17integral_constantIbLb1EES12_IbLb0EEEEDaSY_SZ_EUlSY_E_NS1_11comp_targetILNS1_3genE5ELNS1_11target_archE942ELNS1_3gpuE9ELNS1_3repE0EEENS1_30default_config_static_selectorELNS0_4arch9wavefront6targetE0EEEvT1_.has_dyn_sized_stack, 0
	.set _ZN7rocprim17ROCPRIM_400000_NS6detail17trampoline_kernelINS0_14default_configENS1_29reduce_by_key_config_selectorIifN6thrust23THRUST_200600_302600_NS4plusIfEEEEZZNS1_33reduce_by_key_impl_wrapped_configILNS1_25lookback_scan_determinismE0ES3_S9_NS6_6detail15normal_iteratorINS6_10device_ptrIiEEEENSD_INSE_IfEEEESG_SI_PmS8_NS6_8equal_toIiEEEE10hipError_tPvRmT2_T3_mT4_T5_T6_T7_T8_P12ihipStream_tbENKUlT_T0_E_clISt17integral_constantIbLb1EES12_IbLb0EEEEDaSY_SZ_EUlSY_E_NS1_11comp_targetILNS1_3genE5ELNS1_11target_archE942ELNS1_3gpuE9ELNS1_3repE0EEENS1_30default_config_static_selectorELNS0_4arch9wavefront6targetE0EEEvT1_.has_recursion, 0
	.set _ZN7rocprim17ROCPRIM_400000_NS6detail17trampoline_kernelINS0_14default_configENS1_29reduce_by_key_config_selectorIifN6thrust23THRUST_200600_302600_NS4plusIfEEEEZZNS1_33reduce_by_key_impl_wrapped_configILNS1_25lookback_scan_determinismE0ES3_S9_NS6_6detail15normal_iteratorINS6_10device_ptrIiEEEENSD_INSE_IfEEEESG_SI_PmS8_NS6_8equal_toIiEEEE10hipError_tPvRmT2_T3_mT4_T5_T6_T7_T8_P12ihipStream_tbENKUlT_T0_E_clISt17integral_constantIbLb1EES12_IbLb0EEEEDaSY_SZ_EUlSY_E_NS1_11comp_targetILNS1_3genE5ELNS1_11target_archE942ELNS1_3gpuE9ELNS1_3repE0EEENS1_30default_config_static_selectorELNS0_4arch9wavefront6targetE0EEEvT1_.has_indirect_call, 0
	.section	.AMDGPU.csdata,"",@progbits
; Kernel info:
; codeLenInByte = 0
; TotalNumSgprs: 0
; NumVgprs: 0
; ScratchSize: 0
; MemoryBound: 0
; FloatMode: 240
; IeeeMode: 1
; LDSByteSize: 0 bytes/workgroup (compile time only)
; SGPRBlocks: 0
; VGPRBlocks: 0
; NumSGPRsForWavesPerEU: 1
; NumVGPRsForWavesPerEU: 1
; Occupancy: 16
; WaveLimiterHint : 0
; COMPUTE_PGM_RSRC2:SCRATCH_EN: 0
; COMPUTE_PGM_RSRC2:USER_SGPR: 6
; COMPUTE_PGM_RSRC2:TRAP_HANDLER: 0
; COMPUTE_PGM_RSRC2:TGID_X_EN: 1
; COMPUTE_PGM_RSRC2:TGID_Y_EN: 0
; COMPUTE_PGM_RSRC2:TGID_Z_EN: 0
; COMPUTE_PGM_RSRC2:TIDIG_COMP_CNT: 0
	.section	.text._ZN7rocprim17ROCPRIM_400000_NS6detail17trampoline_kernelINS0_14default_configENS1_29reduce_by_key_config_selectorIifN6thrust23THRUST_200600_302600_NS4plusIfEEEEZZNS1_33reduce_by_key_impl_wrapped_configILNS1_25lookback_scan_determinismE0ES3_S9_NS6_6detail15normal_iteratorINS6_10device_ptrIiEEEENSD_INSE_IfEEEESG_SI_PmS8_NS6_8equal_toIiEEEE10hipError_tPvRmT2_T3_mT4_T5_T6_T7_T8_P12ihipStream_tbENKUlT_T0_E_clISt17integral_constantIbLb1EES12_IbLb0EEEEDaSY_SZ_EUlSY_E_NS1_11comp_targetILNS1_3genE4ELNS1_11target_archE910ELNS1_3gpuE8ELNS1_3repE0EEENS1_30default_config_static_selectorELNS0_4arch9wavefront6targetE0EEEvT1_,"axG",@progbits,_ZN7rocprim17ROCPRIM_400000_NS6detail17trampoline_kernelINS0_14default_configENS1_29reduce_by_key_config_selectorIifN6thrust23THRUST_200600_302600_NS4plusIfEEEEZZNS1_33reduce_by_key_impl_wrapped_configILNS1_25lookback_scan_determinismE0ES3_S9_NS6_6detail15normal_iteratorINS6_10device_ptrIiEEEENSD_INSE_IfEEEESG_SI_PmS8_NS6_8equal_toIiEEEE10hipError_tPvRmT2_T3_mT4_T5_T6_T7_T8_P12ihipStream_tbENKUlT_T0_E_clISt17integral_constantIbLb1EES12_IbLb0EEEEDaSY_SZ_EUlSY_E_NS1_11comp_targetILNS1_3genE4ELNS1_11target_archE910ELNS1_3gpuE8ELNS1_3repE0EEENS1_30default_config_static_selectorELNS0_4arch9wavefront6targetE0EEEvT1_,comdat
	.protected	_ZN7rocprim17ROCPRIM_400000_NS6detail17trampoline_kernelINS0_14default_configENS1_29reduce_by_key_config_selectorIifN6thrust23THRUST_200600_302600_NS4plusIfEEEEZZNS1_33reduce_by_key_impl_wrapped_configILNS1_25lookback_scan_determinismE0ES3_S9_NS6_6detail15normal_iteratorINS6_10device_ptrIiEEEENSD_INSE_IfEEEESG_SI_PmS8_NS6_8equal_toIiEEEE10hipError_tPvRmT2_T3_mT4_T5_T6_T7_T8_P12ihipStream_tbENKUlT_T0_E_clISt17integral_constantIbLb1EES12_IbLb0EEEEDaSY_SZ_EUlSY_E_NS1_11comp_targetILNS1_3genE4ELNS1_11target_archE910ELNS1_3gpuE8ELNS1_3repE0EEENS1_30default_config_static_selectorELNS0_4arch9wavefront6targetE0EEEvT1_ ; -- Begin function _ZN7rocprim17ROCPRIM_400000_NS6detail17trampoline_kernelINS0_14default_configENS1_29reduce_by_key_config_selectorIifN6thrust23THRUST_200600_302600_NS4plusIfEEEEZZNS1_33reduce_by_key_impl_wrapped_configILNS1_25lookback_scan_determinismE0ES3_S9_NS6_6detail15normal_iteratorINS6_10device_ptrIiEEEENSD_INSE_IfEEEESG_SI_PmS8_NS6_8equal_toIiEEEE10hipError_tPvRmT2_T3_mT4_T5_T6_T7_T8_P12ihipStream_tbENKUlT_T0_E_clISt17integral_constantIbLb1EES12_IbLb0EEEEDaSY_SZ_EUlSY_E_NS1_11comp_targetILNS1_3genE4ELNS1_11target_archE910ELNS1_3gpuE8ELNS1_3repE0EEENS1_30default_config_static_selectorELNS0_4arch9wavefront6targetE0EEEvT1_
	.globl	_ZN7rocprim17ROCPRIM_400000_NS6detail17trampoline_kernelINS0_14default_configENS1_29reduce_by_key_config_selectorIifN6thrust23THRUST_200600_302600_NS4plusIfEEEEZZNS1_33reduce_by_key_impl_wrapped_configILNS1_25lookback_scan_determinismE0ES3_S9_NS6_6detail15normal_iteratorINS6_10device_ptrIiEEEENSD_INSE_IfEEEESG_SI_PmS8_NS6_8equal_toIiEEEE10hipError_tPvRmT2_T3_mT4_T5_T6_T7_T8_P12ihipStream_tbENKUlT_T0_E_clISt17integral_constantIbLb1EES12_IbLb0EEEEDaSY_SZ_EUlSY_E_NS1_11comp_targetILNS1_3genE4ELNS1_11target_archE910ELNS1_3gpuE8ELNS1_3repE0EEENS1_30default_config_static_selectorELNS0_4arch9wavefront6targetE0EEEvT1_
	.p2align	8
	.type	_ZN7rocprim17ROCPRIM_400000_NS6detail17trampoline_kernelINS0_14default_configENS1_29reduce_by_key_config_selectorIifN6thrust23THRUST_200600_302600_NS4plusIfEEEEZZNS1_33reduce_by_key_impl_wrapped_configILNS1_25lookback_scan_determinismE0ES3_S9_NS6_6detail15normal_iteratorINS6_10device_ptrIiEEEENSD_INSE_IfEEEESG_SI_PmS8_NS6_8equal_toIiEEEE10hipError_tPvRmT2_T3_mT4_T5_T6_T7_T8_P12ihipStream_tbENKUlT_T0_E_clISt17integral_constantIbLb1EES12_IbLb0EEEEDaSY_SZ_EUlSY_E_NS1_11comp_targetILNS1_3genE4ELNS1_11target_archE910ELNS1_3gpuE8ELNS1_3repE0EEENS1_30default_config_static_selectorELNS0_4arch9wavefront6targetE0EEEvT1_,@function
_ZN7rocprim17ROCPRIM_400000_NS6detail17trampoline_kernelINS0_14default_configENS1_29reduce_by_key_config_selectorIifN6thrust23THRUST_200600_302600_NS4plusIfEEEEZZNS1_33reduce_by_key_impl_wrapped_configILNS1_25lookback_scan_determinismE0ES3_S9_NS6_6detail15normal_iteratorINS6_10device_ptrIiEEEENSD_INSE_IfEEEESG_SI_PmS8_NS6_8equal_toIiEEEE10hipError_tPvRmT2_T3_mT4_T5_T6_T7_T8_P12ihipStream_tbENKUlT_T0_E_clISt17integral_constantIbLb1EES12_IbLb0EEEEDaSY_SZ_EUlSY_E_NS1_11comp_targetILNS1_3genE4ELNS1_11target_archE910ELNS1_3gpuE8ELNS1_3repE0EEENS1_30default_config_static_selectorELNS0_4arch9wavefront6targetE0EEEvT1_: ; @_ZN7rocprim17ROCPRIM_400000_NS6detail17trampoline_kernelINS0_14default_configENS1_29reduce_by_key_config_selectorIifN6thrust23THRUST_200600_302600_NS4plusIfEEEEZZNS1_33reduce_by_key_impl_wrapped_configILNS1_25lookback_scan_determinismE0ES3_S9_NS6_6detail15normal_iteratorINS6_10device_ptrIiEEEENSD_INSE_IfEEEESG_SI_PmS8_NS6_8equal_toIiEEEE10hipError_tPvRmT2_T3_mT4_T5_T6_T7_T8_P12ihipStream_tbENKUlT_T0_E_clISt17integral_constantIbLb1EES12_IbLb0EEEEDaSY_SZ_EUlSY_E_NS1_11comp_targetILNS1_3genE4ELNS1_11target_archE910ELNS1_3gpuE8ELNS1_3repE0EEENS1_30default_config_static_selectorELNS0_4arch9wavefront6targetE0EEEvT1_
; %bb.0:
	.section	.rodata,"a",@progbits
	.p2align	6, 0x0
	.amdhsa_kernel _ZN7rocprim17ROCPRIM_400000_NS6detail17trampoline_kernelINS0_14default_configENS1_29reduce_by_key_config_selectorIifN6thrust23THRUST_200600_302600_NS4plusIfEEEEZZNS1_33reduce_by_key_impl_wrapped_configILNS1_25lookback_scan_determinismE0ES3_S9_NS6_6detail15normal_iteratorINS6_10device_ptrIiEEEENSD_INSE_IfEEEESG_SI_PmS8_NS6_8equal_toIiEEEE10hipError_tPvRmT2_T3_mT4_T5_T6_T7_T8_P12ihipStream_tbENKUlT_T0_E_clISt17integral_constantIbLb1EES12_IbLb0EEEEDaSY_SZ_EUlSY_E_NS1_11comp_targetILNS1_3genE4ELNS1_11target_archE910ELNS1_3gpuE8ELNS1_3repE0EEENS1_30default_config_static_selectorELNS0_4arch9wavefront6targetE0EEEvT1_
		.amdhsa_group_segment_fixed_size 0
		.amdhsa_private_segment_fixed_size 0
		.amdhsa_kernarg_size 120
		.amdhsa_user_sgpr_count 6
		.amdhsa_user_sgpr_private_segment_buffer 1
		.amdhsa_user_sgpr_dispatch_ptr 0
		.amdhsa_user_sgpr_queue_ptr 0
		.amdhsa_user_sgpr_kernarg_segment_ptr 1
		.amdhsa_user_sgpr_dispatch_id 0
		.amdhsa_user_sgpr_flat_scratch_init 0
		.amdhsa_user_sgpr_private_segment_size 0
		.amdhsa_wavefront_size32 1
		.amdhsa_uses_dynamic_stack 0
		.amdhsa_system_sgpr_private_segment_wavefront_offset 0
		.amdhsa_system_sgpr_workgroup_id_x 1
		.amdhsa_system_sgpr_workgroup_id_y 0
		.amdhsa_system_sgpr_workgroup_id_z 0
		.amdhsa_system_sgpr_workgroup_info 0
		.amdhsa_system_vgpr_workitem_id 0
		.amdhsa_next_free_vgpr 1
		.amdhsa_next_free_sgpr 1
		.amdhsa_reserve_vcc 0
		.amdhsa_reserve_flat_scratch 0
		.amdhsa_float_round_mode_32 0
		.amdhsa_float_round_mode_16_64 0
		.amdhsa_float_denorm_mode_32 3
		.amdhsa_float_denorm_mode_16_64 3
		.amdhsa_dx10_clamp 1
		.amdhsa_ieee_mode 1
		.amdhsa_fp16_overflow 0
		.amdhsa_workgroup_processor_mode 1
		.amdhsa_memory_ordered 1
		.amdhsa_forward_progress 1
		.amdhsa_shared_vgpr_count 0
		.amdhsa_exception_fp_ieee_invalid_op 0
		.amdhsa_exception_fp_denorm_src 0
		.amdhsa_exception_fp_ieee_div_zero 0
		.amdhsa_exception_fp_ieee_overflow 0
		.amdhsa_exception_fp_ieee_underflow 0
		.amdhsa_exception_fp_ieee_inexact 0
		.amdhsa_exception_int_div_zero 0
	.end_amdhsa_kernel
	.section	.text._ZN7rocprim17ROCPRIM_400000_NS6detail17trampoline_kernelINS0_14default_configENS1_29reduce_by_key_config_selectorIifN6thrust23THRUST_200600_302600_NS4plusIfEEEEZZNS1_33reduce_by_key_impl_wrapped_configILNS1_25lookback_scan_determinismE0ES3_S9_NS6_6detail15normal_iteratorINS6_10device_ptrIiEEEENSD_INSE_IfEEEESG_SI_PmS8_NS6_8equal_toIiEEEE10hipError_tPvRmT2_T3_mT4_T5_T6_T7_T8_P12ihipStream_tbENKUlT_T0_E_clISt17integral_constantIbLb1EES12_IbLb0EEEEDaSY_SZ_EUlSY_E_NS1_11comp_targetILNS1_3genE4ELNS1_11target_archE910ELNS1_3gpuE8ELNS1_3repE0EEENS1_30default_config_static_selectorELNS0_4arch9wavefront6targetE0EEEvT1_,"axG",@progbits,_ZN7rocprim17ROCPRIM_400000_NS6detail17trampoline_kernelINS0_14default_configENS1_29reduce_by_key_config_selectorIifN6thrust23THRUST_200600_302600_NS4plusIfEEEEZZNS1_33reduce_by_key_impl_wrapped_configILNS1_25lookback_scan_determinismE0ES3_S9_NS6_6detail15normal_iteratorINS6_10device_ptrIiEEEENSD_INSE_IfEEEESG_SI_PmS8_NS6_8equal_toIiEEEE10hipError_tPvRmT2_T3_mT4_T5_T6_T7_T8_P12ihipStream_tbENKUlT_T0_E_clISt17integral_constantIbLb1EES12_IbLb0EEEEDaSY_SZ_EUlSY_E_NS1_11comp_targetILNS1_3genE4ELNS1_11target_archE910ELNS1_3gpuE8ELNS1_3repE0EEENS1_30default_config_static_selectorELNS0_4arch9wavefront6targetE0EEEvT1_,comdat
.Lfunc_end88:
	.size	_ZN7rocprim17ROCPRIM_400000_NS6detail17trampoline_kernelINS0_14default_configENS1_29reduce_by_key_config_selectorIifN6thrust23THRUST_200600_302600_NS4plusIfEEEEZZNS1_33reduce_by_key_impl_wrapped_configILNS1_25lookback_scan_determinismE0ES3_S9_NS6_6detail15normal_iteratorINS6_10device_ptrIiEEEENSD_INSE_IfEEEESG_SI_PmS8_NS6_8equal_toIiEEEE10hipError_tPvRmT2_T3_mT4_T5_T6_T7_T8_P12ihipStream_tbENKUlT_T0_E_clISt17integral_constantIbLb1EES12_IbLb0EEEEDaSY_SZ_EUlSY_E_NS1_11comp_targetILNS1_3genE4ELNS1_11target_archE910ELNS1_3gpuE8ELNS1_3repE0EEENS1_30default_config_static_selectorELNS0_4arch9wavefront6targetE0EEEvT1_, .Lfunc_end88-_ZN7rocprim17ROCPRIM_400000_NS6detail17trampoline_kernelINS0_14default_configENS1_29reduce_by_key_config_selectorIifN6thrust23THRUST_200600_302600_NS4plusIfEEEEZZNS1_33reduce_by_key_impl_wrapped_configILNS1_25lookback_scan_determinismE0ES3_S9_NS6_6detail15normal_iteratorINS6_10device_ptrIiEEEENSD_INSE_IfEEEESG_SI_PmS8_NS6_8equal_toIiEEEE10hipError_tPvRmT2_T3_mT4_T5_T6_T7_T8_P12ihipStream_tbENKUlT_T0_E_clISt17integral_constantIbLb1EES12_IbLb0EEEEDaSY_SZ_EUlSY_E_NS1_11comp_targetILNS1_3genE4ELNS1_11target_archE910ELNS1_3gpuE8ELNS1_3repE0EEENS1_30default_config_static_selectorELNS0_4arch9wavefront6targetE0EEEvT1_
                                        ; -- End function
	.set _ZN7rocprim17ROCPRIM_400000_NS6detail17trampoline_kernelINS0_14default_configENS1_29reduce_by_key_config_selectorIifN6thrust23THRUST_200600_302600_NS4plusIfEEEEZZNS1_33reduce_by_key_impl_wrapped_configILNS1_25lookback_scan_determinismE0ES3_S9_NS6_6detail15normal_iteratorINS6_10device_ptrIiEEEENSD_INSE_IfEEEESG_SI_PmS8_NS6_8equal_toIiEEEE10hipError_tPvRmT2_T3_mT4_T5_T6_T7_T8_P12ihipStream_tbENKUlT_T0_E_clISt17integral_constantIbLb1EES12_IbLb0EEEEDaSY_SZ_EUlSY_E_NS1_11comp_targetILNS1_3genE4ELNS1_11target_archE910ELNS1_3gpuE8ELNS1_3repE0EEENS1_30default_config_static_selectorELNS0_4arch9wavefront6targetE0EEEvT1_.num_vgpr, 0
	.set _ZN7rocprim17ROCPRIM_400000_NS6detail17trampoline_kernelINS0_14default_configENS1_29reduce_by_key_config_selectorIifN6thrust23THRUST_200600_302600_NS4plusIfEEEEZZNS1_33reduce_by_key_impl_wrapped_configILNS1_25lookback_scan_determinismE0ES3_S9_NS6_6detail15normal_iteratorINS6_10device_ptrIiEEEENSD_INSE_IfEEEESG_SI_PmS8_NS6_8equal_toIiEEEE10hipError_tPvRmT2_T3_mT4_T5_T6_T7_T8_P12ihipStream_tbENKUlT_T0_E_clISt17integral_constantIbLb1EES12_IbLb0EEEEDaSY_SZ_EUlSY_E_NS1_11comp_targetILNS1_3genE4ELNS1_11target_archE910ELNS1_3gpuE8ELNS1_3repE0EEENS1_30default_config_static_selectorELNS0_4arch9wavefront6targetE0EEEvT1_.num_agpr, 0
	.set _ZN7rocprim17ROCPRIM_400000_NS6detail17trampoline_kernelINS0_14default_configENS1_29reduce_by_key_config_selectorIifN6thrust23THRUST_200600_302600_NS4plusIfEEEEZZNS1_33reduce_by_key_impl_wrapped_configILNS1_25lookback_scan_determinismE0ES3_S9_NS6_6detail15normal_iteratorINS6_10device_ptrIiEEEENSD_INSE_IfEEEESG_SI_PmS8_NS6_8equal_toIiEEEE10hipError_tPvRmT2_T3_mT4_T5_T6_T7_T8_P12ihipStream_tbENKUlT_T0_E_clISt17integral_constantIbLb1EES12_IbLb0EEEEDaSY_SZ_EUlSY_E_NS1_11comp_targetILNS1_3genE4ELNS1_11target_archE910ELNS1_3gpuE8ELNS1_3repE0EEENS1_30default_config_static_selectorELNS0_4arch9wavefront6targetE0EEEvT1_.numbered_sgpr, 0
	.set _ZN7rocprim17ROCPRIM_400000_NS6detail17trampoline_kernelINS0_14default_configENS1_29reduce_by_key_config_selectorIifN6thrust23THRUST_200600_302600_NS4plusIfEEEEZZNS1_33reduce_by_key_impl_wrapped_configILNS1_25lookback_scan_determinismE0ES3_S9_NS6_6detail15normal_iteratorINS6_10device_ptrIiEEEENSD_INSE_IfEEEESG_SI_PmS8_NS6_8equal_toIiEEEE10hipError_tPvRmT2_T3_mT4_T5_T6_T7_T8_P12ihipStream_tbENKUlT_T0_E_clISt17integral_constantIbLb1EES12_IbLb0EEEEDaSY_SZ_EUlSY_E_NS1_11comp_targetILNS1_3genE4ELNS1_11target_archE910ELNS1_3gpuE8ELNS1_3repE0EEENS1_30default_config_static_selectorELNS0_4arch9wavefront6targetE0EEEvT1_.num_named_barrier, 0
	.set _ZN7rocprim17ROCPRIM_400000_NS6detail17trampoline_kernelINS0_14default_configENS1_29reduce_by_key_config_selectorIifN6thrust23THRUST_200600_302600_NS4plusIfEEEEZZNS1_33reduce_by_key_impl_wrapped_configILNS1_25lookback_scan_determinismE0ES3_S9_NS6_6detail15normal_iteratorINS6_10device_ptrIiEEEENSD_INSE_IfEEEESG_SI_PmS8_NS6_8equal_toIiEEEE10hipError_tPvRmT2_T3_mT4_T5_T6_T7_T8_P12ihipStream_tbENKUlT_T0_E_clISt17integral_constantIbLb1EES12_IbLb0EEEEDaSY_SZ_EUlSY_E_NS1_11comp_targetILNS1_3genE4ELNS1_11target_archE910ELNS1_3gpuE8ELNS1_3repE0EEENS1_30default_config_static_selectorELNS0_4arch9wavefront6targetE0EEEvT1_.private_seg_size, 0
	.set _ZN7rocprim17ROCPRIM_400000_NS6detail17trampoline_kernelINS0_14default_configENS1_29reduce_by_key_config_selectorIifN6thrust23THRUST_200600_302600_NS4plusIfEEEEZZNS1_33reduce_by_key_impl_wrapped_configILNS1_25lookback_scan_determinismE0ES3_S9_NS6_6detail15normal_iteratorINS6_10device_ptrIiEEEENSD_INSE_IfEEEESG_SI_PmS8_NS6_8equal_toIiEEEE10hipError_tPvRmT2_T3_mT4_T5_T6_T7_T8_P12ihipStream_tbENKUlT_T0_E_clISt17integral_constantIbLb1EES12_IbLb0EEEEDaSY_SZ_EUlSY_E_NS1_11comp_targetILNS1_3genE4ELNS1_11target_archE910ELNS1_3gpuE8ELNS1_3repE0EEENS1_30default_config_static_selectorELNS0_4arch9wavefront6targetE0EEEvT1_.uses_vcc, 0
	.set _ZN7rocprim17ROCPRIM_400000_NS6detail17trampoline_kernelINS0_14default_configENS1_29reduce_by_key_config_selectorIifN6thrust23THRUST_200600_302600_NS4plusIfEEEEZZNS1_33reduce_by_key_impl_wrapped_configILNS1_25lookback_scan_determinismE0ES3_S9_NS6_6detail15normal_iteratorINS6_10device_ptrIiEEEENSD_INSE_IfEEEESG_SI_PmS8_NS6_8equal_toIiEEEE10hipError_tPvRmT2_T3_mT4_T5_T6_T7_T8_P12ihipStream_tbENKUlT_T0_E_clISt17integral_constantIbLb1EES12_IbLb0EEEEDaSY_SZ_EUlSY_E_NS1_11comp_targetILNS1_3genE4ELNS1_11target_archE910ELNS1_3gpuE8ELNS1_3repE0EEENS1_30default_config_static_selectorELNS0_4arch9wavefront6targetE0EEEvT1_.uses_flat_scratch, 0
	.set _ZN7rocprim17ROCPRIM_400000_NS6detail17trampoline_kernelINS0_14default_configENS1_29reduce_by_key_config_selectorIifN6thrust23THRUST_200600_302600_NS4plusIfEEEEZZNS1_33reduce_by_key_impl_wrapped_configILNS1_25lookback_scan_determinismE0ES3_S9_NS6_6detail15normal_iteratorINS6_10device_ptrIiEEEENSD_INSE_IfEEEESG_SI_PmS8_NS6_8equal_toIiEEEE10hipError_tPvRmT2_T3_mT4_T5_T6_T7_T8_P12ihipStream_tbENKUlT_T0_E_clISt17integral_constantIbLb1EES12_IbLb0EEEEDaSY_SZ_EUlSY_E_NS1_11comp_targetILNS1_3genE4ELNS1_11target_archE910ELNS1_3gpuE8ELNS1_3repE0EEENS1_30default_config_static_selectorELNS0_4arch9wavefront6targetE0EEEvT1_.has_dyn_sized_stack, 0
	.set _ZN7rocprim17ROCPRIM_400000_NS6detail17trampoline_kernelINS0_14default_configENS1_29reduce_by_key_config_selectorIifN6thrust23THRUST_200600_302600_NS4plusIfEEEEZZNS1_33reduce_by_key_impl_wrapped_configILNS1_25lookback_scan_determinismE0ES3_S9_NS6_6detail15normal_iteratorINS6_10device_ptrIiEEEENSD_INSE_IfEEEESG_SI_PmS8_NS6_8equal_toIiEEEE10hipError_tPvRmT2_T3_mT4_T5_T6_T7_T8_P12ihipStream_tbENKUlT_T0_E_clISt17integral_constantIbLb1EES12_IbLb0EEEEDaSY_SZ_EUlSY_E_NS1_11comp_targetILNS1_3genE4ELNS1_11target_archE910ELNS1_3gpuE8ELNS1_3repE0EEENS1_30default_config_static_selectorELNS0_4arch9wavefront6targetE0EEEvT1_.has_recursion, 0
	.set _ZN7rocprim17ROCPRIM_400000_NS6detail17trampoline_kernelINS0_14default_configENS1_29reduce_by_key_config_selectorIifN6thrust23THRUST_200600_302600_NS4plusIfEEEEZZNS1_33reduce_by_key_impl_wrapped_configILNS1_25lookback_scan_determinismE0ES3_S9_NS6_6detail15normal_iteratorINS6_10device_ptrIiEEEENSD_INSE_IfEEEESG_SI_PmS8_NS6_8equal_toIiEEEE10hipError_tPvRmT2_T3_mT4_T5_T6_T7_T8_P12ihipStream_tbENKUlT_T0_E_clISt17integral_constantIbLb1EES12_IbLb0EEEEDaSY_SZ_EUlSY_E_NS1_11comp_targetILNS1_3genE4ELNS1_11target_archE910ELNS1_3gpuE8ELNS1_3repE0EEENS1_30default_config_static_selectorELNS0_4arch9wavefront6targetE0EEEvT1_.has_indirect_call, 0
	.section	.AMDGPU.csdata,"",@progbits
; Kernel info:
; codeLenInByte = 0
; TotalNumSgprs: 0
; NumVgprs: 0
; ScratchSize: 0
; MemoryBound: 0
; FloatMode: 240
; IeeeMode: 1
; LDSByteSize: 0 bytes/workgroup (compile time only)
; SGPRBlocks: 0
; VGPRBlocks: 0
; NumSGPRsForWavesPerEU: 1
; NumVGPRsForWavesPerEU: 1
; Occupancy: 16
; WaveLimiterHint : 0
; COMPUTE_PGM_RSRC2:SCRATCH_EN: 0
; COMPUTE_PGM_RSRC2:USER_SGPR: 6
; COMPUTE_PGM_RSRC2:TRAP_HANDLER: 0
; COMPUTE_PGM_RSRC2:TGID_X_EN: 1
; COMPUTE_PGM_RSRC2:TGID_Y_EN: 0
; COMPUTE_PGM_RSRC2:TGID_Z_EN: 0
; COMPUTE_PGM_RSRC2:TIDIG_COMP_CNT: 0
	.section	.text._ZN7rocprim17ROCPRIM_400000_NS6detail17trampoline_kernelINS0_14default_configENS1_29reduce_by_key_config_selectorIifN6thrust23THRUST_200600_302600_NS4plusIfEEEEZZNS1_33reduce_by_key_impl_wrapped_configILNS1_25lookback_scan_determinismE0ES3_S9_NS6_6detail15normal_iteratorINS6_10device_ptrIiEEEENSD_INSE_IfEEEESG_SI_PmS8_NS6_8equal_toIiEEEE10hipError_tPvRmT2_T3_mT4_T5_T6_T7_T8_P12ihipStream_tbENKUlT_T0_E_clISt17integral_constantIbLb1EES12_IbLb0EEEEDaSY_SZ_EUlSY_E_NS1_11comp_targetILNS1_3genE3ELNS1_11target_archE908ELNS1_3gpuE7ELNS1_3repE0EEENS1_30default_config_static_selectorELNS0_4arch9wavefront6targetE0EEEvT1_,"axG",@progbits,_ZN7rocprim17ROCPRIM_400000_NS6detail17trampoline_kernelINS0_14default_configENS1_29reduce_by_key_config_selectorIifN6thrust23THRUST_200600_302600_NS4plusIfEEEEZZNS1_33reduce_by_key_impl_wrapped_configILNS1_25lookback_scan_determinismE0ES3_S9_NS6_6detail15normal_iteratorINS6_10device_ptrIiEEEENSD_INSE_IfEEEESG_SI_PmS8_NS6_8equal_toIiEEEE10hipError_tPvRmT2_T3_mT4_T5_T6_T7_T8_P12ihipStream_tbENKUlT_T0_E_clISt17integral_constantIbLb1EES12_IbLb0EEEEDaSY_SZ_EUlSY_E_NS1_11comp_targetILNS1_3genE3ELNS1_11target_archE908ELNS1_3gpuE7ELNS1_3repE0EEENS1_30default_config_static_selectorELNS0_4arch9wavefront6targetE0EEEvT1_,comdat
	.protected	_ZN7rocprim17ROCPRIM_400000_NS6detail17trampoline_kernelINS0_14default_configENS1_29reduce_by_key_config_selectorIifN6thrust23THRUST_200600_302600_NS4plusIfEEEEZZNS1_33reduce_by_key_impl_wrapped_configILNS1_25lookback_scan_determinismE0ES3_S9_NS6_6detail15normal_iteratorINS6_10device_ptrIiEEEENSD_INSE_IfEEEESG_SI_PmS8_NS6_8equal_toIiEEEE10hipError_tPvRmT2_T3_mT4_T5_T6_T7_T8_P12ihipStream_tbENKUlT_T0_E_clISt17integral_constantIbLb1EES12_IbLb0EEEEDaSY_SZ_EUlSY_E_NS1_11comp_targetILNS1_3genE3ELNS1_11target_archE908ELNS1_3gpuE7ELNS1_3repE0EEENS1_30default_config_static_selectorELNS0_4arch9wavefront6targetE0EEEvT1_ ; -- Begin function _ZN7rocprim17ROCPRIM_400000_NS6detail17trampoline_kernelINS0_14default_configENS1_29reduce_by_key_config_selectorIifN6thrust23THRUST_200600_302600_NS4plusIfEEEEZZNS1_33reduce_by_key_impl_wrapped_configILNS1_25lookback_scan_determinismE0ES3_S9_NS6_6detail15normal_iteratorINS6_10device_ptrIiEEEENSD_INSE_IfEEEESG_SI_PmS8_NS6_8equal_toIiEEEE10hipError_tPvRmT2_T3_mT4_T5_T6_T7_T8_P12ihipStream_tbENKUlT_T0_E_clISt17integral_constantIbLb1EES12_IbLb0EEEEDaSY_SZ_EUlSY_E_NS1_11comp_targetILNS1_3genE3ELNS1_11target_archE908ELNS1_3gpuE7ELNS1_3repE0EEENS1_30default_config_static_selectorELNS0_4arch9wavefront6targetE0EEEvT1_
	.globl	_ZN7rocprim17ROCPRIM_400000_NS6detail17trampoline_kernelINS0_14default_configENS1_29reduce_by_key_config_selectorIifN6thrust23THRUST_200600_302600_NS4plusIfEEEEZZNS1_33reduce_by_key_impl_wrapped_configILNS1_25lookback_scan_determinismE0ES3_S9_NS6_6detail15normal_iteratorINS6_10device_ptrIiEEEENSD_INSE_IfEEEESG_SI_PmS8_NS6_8equal_toIiEEEE10hipError_tPvRmT2_T3_mT4_T5_T6_T7_T8_P12ihipStream_tbENKUlT_T0_E_clISt17integral_constantIbLb1EES12_IbLb0EEEEDaSY_SZ_EUlSY_E_NS1_11comp_targetILNS1_3genE3ELNS1_11target_archE908ELNS1_3gpuE7ELNS1_3repE0EEENS1_30default_config_static_selectorELNS0_4arch9wavefront6targetE0EEEvT1_
	.p2align	8
	.type	_ZN7rocprim17ROCPRIM_400000_NS6detail17trampoline_kernelINS0_14default_configENS1_29reduce_by_key_config_selectorIifN6thrust23THRUST_200600_302600_NS4plusIfEEEEZZNS1_33reduce_by_key_impl_wrapped_configILNS1_25lookback_scan_determinismE0ES3_S9_NS6_6detail15normal_iteratorINS6_10device_ptrIiEEEENSD_INSE_IfEEEESG_SI_PmS8_NS6_8equal_toIiEEEE10hipError_tPvRmT2_T3_mT4_T5_T6_T7_T8_P12ihipStream_tbENKUlT_T0_E_clISt17integral_constantIbLb1EES12_IbLb0EEEEDaSY_SZ_EUlSY_E_NS1_11comp_targetILNS1_3genE3ELNS1_11target_archE908ELNS1_3gpuE7ELNS1_3repE0EEENS1_30default_config_static_selectorELNS0_4arch9wavefront6targetE0EEEvT1_,@function
_ZN7rocprim17ROCPRIM_400000_NS6detail17trampoline_kernelINS0_14default_configENS1_29reduce_by_key_config_selectorIifN6thrust23THRUST_200600_302600_NS4plusIfEEEEZZNS1_33reduce_by_key_impl_wrapped_configILNS1_25lookback_scan_determinismE0ES3_S9_NS6_6detail15normal_iteratorINS6_10device_ptrIiEEEENSD_INSE_IfEEEESG_SI_PmS8_NS6_8equal_toIiEEEE10hipError_tPvRmT2_T3_mT4_T5_T6_T7_T8_P12ihipStream_tbENKUlT_T0_E_clISt17integral_constantIbLb1EES12_IbLb0EEEEDaSY_SZ_EUlSY_E_NS1_11comp_targetILNS1_3genE3ELNS1_11target_archE908ELNS1_3gpuE7ELNS1_3repE0EEENS1_30default_config_static_selectorELNS0_4arch9wavefront6targetE0EEEvT1_: ; @_ZN7rocprim17ROCPRIM_400000_NS6detail17trampoline_kernelINS0_14default_configENS1_29reduce_by_key_config_selectorIifN6thrust23THRUST_200600_302600_NS4plusIfEEEEZZNS1_33reduce_by_key_impl_wrapped_configILNS1_25lookback_scan_determinismE0ES3_S9_NS6_6detail15normal_iteratorINS6_10device_ptrIiEEEENSD_INSE_IfEEEESG_SI_PmS8_NS6_8equal_toIiEEEE10hipError_tPvRmT2_T3_mT4_T5_T6_T7_T8_P12ihipStream_tbENKUlT_T0_E_clISt17integral_constantIbLb1EES12_IbLb0EEEEDaSY_SZ_EUlSY_E_NS1_11comp_targetILNS1_3genE3ELNS1_11target_archE908ELNS1_3gpuE7ELNS1_3repE0EEENS1_30default_config_static_selectorELNS0_4arch9wavefront6targetE0EEEvT1_
; %bb.0:
	.section	.rodata,"a",@progbits
	.p2align	6, 0x0
	.amdhsa_kernel _ZN7rocprim17ROCPRIM_400000_NS6detail17trampoline_kernelINS0_14default_configENS1_29reduce_by_key_config_selectorIifN6thrust23THRUST_200600_302600_NS4plusIfEEEEZZNS1_33reduce_by_key_impl_wrapped_configILNS1_25lookback_scan_determinismE0ES3_S9_NS6_6detail15normal_iteratorINS6_10device_ptrIiEEEENSD_INSE_IfEEEESG_SI_PmS8_NS6_8equal_toIiEEEE10hipError_tPvRmT2_T3_mT4_T5_T6_T7_T8_P12ihipStream_tbENKUlT_T0_E_clISt17integral_constantIbLb1EES12_IbLb0EEEEDaSY_SZ_EUlSY_E_NS1_11comp_targetILNS1_3genE3ELNS1_11target_archE908ELNS1_3gpuE7ELNS1_3repE0EEENS1_30default_config_static_selectorELNS0_4arch9wavefront6targetE0EEEvT1_
		.amdhsa_group_segment_fixed_size 0
		.amdhsa_private_segment_fixed_size 0
		.amdhsa_kernarg_size 120
		.amdhsa_user_sgpr_count 6
		.amdhsa_user_sgpr_private_segment_buffer 1
		.amdhsa_user_sgpr_dispatch_ptr 0
		.amdhsa_user_sgpr_queue_ptr 0
		.amdhsa_user_sgpr_kernarg_segment_ptr 1
		.amdhsa_user_sgpr_dispatch_id 0
		.amdhsa_user_sgpr_flat_scratch_init 0
		.amdhsa_user_sgpr_private_segment_size 0
		.amdhsa_wavefront_size32 1
		.amdhsa_uses_dynamic_stack 0
		.amdhsa_system_sgpr_private_segment_wavefront_offset 0
		.amdhsa_system_sgpr_workgroup_id_x 1
		.amdhsa_system_sgpr_workgroup_id_y 0
		.amdhsa_system_sgpr_workgroup_id_z 0
		.amdhsa_system_sgpr_workgroup_info 0
		.amdhsa_system_vgpr_workitem_id 0
		.amdhsa_next_free_vgpr 1
		.amdhsa_next_free_sgpr 1
		.amdhsa_reserve_vcc 0
		.amdhsa_reserve_flat_scratch 0
		.amdhsa_float_round_mode_32 0
		.amdhsa_float_round_mode_16_64 0
		.amdhsa_float_denorm_mode_32 3
		.amdhsa_float_denorm_mode_16_64 3
		.amdhsa_dx10_clamp 1
		.amdhsa_ieee_mode 1
		.amdhsa_fp16_overflow 0
		.amdhsa_workgroup_processor_mode 1
		.amdhsa_memory_ordered 1
		.amdhsa_forward_progress 1
		.amdhsa_shared_vgpr_count 0
		.amdhsa_exception_fp_ieee_invalid_op 0
		.amdhsa_exception_fp_denorm_src 0
		.amdhsa_exception_fp_ieee_div_zero 0
		.amdhsa_exception_fp_ieee_overflow 0
		.amdhsa_exception_fp_ieee_underflow 0
		.amdhsa_exception_fp_ieee_inexact 0
		.amdhsa_exception_int_div_zero 0
	.end_amdhsa_kernel
	.section	.text._ZN7rocprim17ROCPRIM_400000_NS6detail17trampoline_kernelINS0_14default_configENS1_29reduce_by_key_config_selectorIifN6thrust23THRUST_200600_302600_NS4plusIfEEEEZZNS1_33reduce_by_key_impl_wrapped_configILNS1_25lookback_scan_determinismE0ES3_S9_NS6_6detail15normal_iteratorINS6_10device_ptrIiEEEENSD_INSE_IfEEEESG_SI_PmS8_NS6_8equal_toIiEEEE10hipError_tPvRmT2_T3_mT4_T5_T6_T7_T8_P12ihipStream_tbENKUlT_T0_E_clISt17integral_constantIbLb1EES12_IbLb0EEEEDaSY_SZ_EUlSY_E_NS1_11comp_targetILNS1_3genE3ELNS1_11target_archE908ELNS1_3gpuE7ELNS1_3repE0EEENS1_30default_config_static_selectorELNS0_4arch9wavefront6targetE0EEEvT1_,"axG",@progbits,_ZN7rocprim17ROCPRIM_400000_NS6detail17trampoline_kernelINS0_14default_configENS1_29reduce_by_key_config_selectorIifN6thrust23THRUST_200600_302600_NS4plusIfEEEEZZNS1_33reduce_by_key_impl_wrapped_configILNS1_25lookback_scan_determinismE0ES3_S9_NS6_6detail15normal_iteratorINS6_10device_ptrIiEEEENSD_INSE_IfEEEESG_SI_PmS8_NS6_8equal_toIiEEEE10hipError_tPvRmT2_T3_mT4_T5_T6_T7_T8_P12ihipStream_tbENKUlT_T0_E_clISt17integral_constantIbLb1EES12_IbLb0EEEEDaSY_SZ_EUlSY_E_NS1_11comp_targetILNS1_3genE3ELNS1_11target_archE908ELNS1_3gpuE7ELNS1_3repE0EEENS1_30default_config_static_selectorELNS0_4arch9wavefront6targetE0EEEvT1_,comdat
.Lfunc_end89:
	.size	_ZN7rocprim17ROCPRIM_400000_NS6detail17trampoline_kernelINS0_14default_configENS1_29reduce_by_key_config_selectorIifN6thrust23THRUST_200600_302600_NS4plusIfEEEEZZNS1_33reduce_by_key_impl_wrapped_configILNS1_25lookback_scan_determinismE0ES3_S9_NS6_6detail15normal_iteratorINS6_10device_ptrIiEEEENSD_INSE_IfEEEESG_SI_PmS8_NS6_8equal_toIiEEEE10hipError_tPvRmT2_T3_mT4_T5_T6_T7_T8_P12ihipStream_tbENKUlT_T0_E_clISt17integral_constantIbLb1EES12_IbLb0EEEEDaSY_SZ_EUlSY_E_NS1_11comp_targetILNS1_3genE3ELNS1_11target_archE908ELNS1_3gpuE7ELNS1_3repE0EEENS1_30default_config_static_selectorELNS0_4arch9wavefront6targetE0EEEvT1_, .Lfunc_end89-_ZN7rocprim17ROCPRIM_400000_NS6detail17trampoline_kernelINS0_14default_configENS1_29reduce_by_key_config_selectorIifN6thrust23THRUST_200600_302600_NS4plusIfEEEEZZNS1_33reduce_by_key_impl_wrapped_configILNS1_25lookback_scan_determinismE0ES3_S9_NS6_6detail15normal_iteratorINS6_10device_ptrIiEEEENSD_INSE_IfEEEESG_SI_PmS8_NS6_8equal_toIiEEEE10hipError_tPvRmT2_T3_mT4_T5_T6_T7_T8_P12ihipStream_tbENKUlT_T0_E_clISt17integral_constantIbLb1EES12_IbLb0EEEEDaSY_SZ_EUlSY_E_NS1_11comp_targetILNS1_3genE3ELNS1_11target_archE908ELNS1_3gpuE7ELNS1_3repE0EEENS1_30default_config_static_selectorELNS0_4arch9wavefront6targetE0EEEvT1_
                                        ; -- End function
	.set _ZN7rocprim17ROCPRIM_400000_NS6detail17trampoline_kernelINS0_14default_configENS1_29reduce_by_key_config_selectorIifN6thrust23THRUST_200600_302600_NS4plusIfEEEEZZNS1_33reduce_by_key_impl_wrapped_configILNS1_25lookback_scan_determinismE0ES3_S9_NS6_6detail15normal_iteratorINS6_10device_ptrIiEEEENSD_INSE_IfEEEESG_SI_PmS8_NS6_8equal_toIiEEEE10hipError_tPvRmT2_T3_mT4_T5_T6_T7_T8_P12ihipStream_tbENKUlT_T0_E_clISt17integral_constantIbLb1EES12_IbLb0EEEEDaSY_SZ_EUlSY_E_NS1_11comp_targetILNS1_3genE3ELNS1_11target_archE908ELNS1_3gpuE7ELNS1_3repE0EEENS1_30default_config_static_selectorELNS0_4arch9wavefront6targetE0EEEvT1_.num_vgpr, 0
	.set _ZN7rocprim17ROCPRIM_400000_NS6detail17trampoline_kernelINS0_14default_configENS1_29reduce_by_key_config_selectorIifN6thrust23THRUST_200600_302600_NS4plusIfEEEEZZNS1_33reduce_by_key_impl_wrapped_configILNS1_25lookback_scan_determinismE0ES3_S9_NS6_6detail15normal_iteratorINS6_10device_ptrIiEEEENSD_INSE_IfEEEESG_SI_PmS8_NS6_8equal_toIiEEEE10hipError_tPvRmT2_T3_mT4_T5_T6_T7_T8_P12ihipStream_tbENKUlT_T0_E_clISt17integral_constantIbLb1EES12_IbLb0EEEEDaSY_SZ_EUlSY_E_NS1_11comp_targetILNS1_3genE3ELNS1_11target_archE908ELNS1_3gpuE7ELNS1_3repE0EEENS1_30default_config_static_selectorELNS0_4arch9wavefront6targetE0EEEvT1_.num_agpr, 0
	.set _ZN7rocprim17ROCPRIM_400000_NS6detail17trampoline_kernelINS0_14default_configENS1_29reduce_by_key_config_selectorIifN6thrust23THRUST_200600_302600_NS4plusIfEEEEZZNS1_33reduce_by_key_impl_wrapped_configILNS1_25lookback_scan_determinismE0ES3_S9_NS6_6detail15normal_iteratorINS6_10device_ptrIiEEEENSD_INSE_IfEEEESG_SI_PmS8_NS6_8equal_toIiEEEE10hipError_tPvRmT2_T3_mT4_T5_T6_T7_T8_P12ihipStream_tbENKUlT_T0_E_clISt17integral_constantIbLb1EES12_IbLb0EEEEDaSY_SZ_EUlSY_E_NS1_11comp_targetILNS1_3genE3ELNS1_11target_archE908ELNS1_3gpuE7ELNS1_3repE0EEENS1_30default_config_static_selectorELNS0_4arch9wavefront6targetE0EEEvT1_.numbered_sgpr, 0
	.set _ZN7rocprim17ROCPRIM_400000_NS6detail17trampoline_kernelINS0_14default_configENS1_29reduce_by_key_config_selectorIifN6thrust23THRUST_200600_302600_NS4plusIfEEEEZZNS1_33reduce_by_key_impl_wrapped_configILNS1_25lookback_scan_determinismE0ES3_S9_NS6_6detail15normal_iteratorINS6_10device_ptrIiEEEENSD_INSE_IfEEEESG_SI_PmS8_NS6_8equal_toIiEEEE10hipError_tPvRmT2_T3_mT4_T5_T6_T7_T8_P12ihipStream_tbENKUlT_T0_E_clISt17integral_constantIbLb1EES12_IbLb0EEEEDaSY_SZ_EUlSY_E_NS1_11comp_targetILNS1_3genE3ELNS1_11target_archE908ELNS1_3gpuE7ELNS1_3repE0EEENS1_30default_config_static_selectorELNS0_4arch9wavefront6targetE0EEEvT1_.num_named_barrier, 0
	.set _ZN7rocprim17ROCPRIM_400000_NS6detail17trampoline_kernelINS0_14default_configENS1_29reduce_by_key_config_selectorIifN6thrust23THRUST_200600_302600_NS4plusIfEEEEZZNS1_33reduce_by_key_impl_wrapped_configILNS1_25lookback_scan_determinismE0ES3_S9_NS6_6detail15normal_iteratorINS6_10device_ptrIiEEEENSD_INSE_IfEEEESG_SI_PmS8_NS6_8equal_toIiEEEE10hipError_tPvRmT2_T3_mT4_T5_T6_T7_T8_P12ihipStream_tbENKUlT_T0_E_clISt17integral_constantIbLb1EES12_IbLb0EEEEDaSY_SZ_EUlSY_E_NS1_11comp_targetILNS1_3genE3ELNS1_11target_archE908ELNS1_3gpuE7ELNS1_3repE0EEENS1_30default_config_static_selectorELNS0_4arch9wavefront6targetE0EEEvT1_.private_seg_size, 0
	.set _ZN7rocprim17ROCPRIM_400000_NS6detail17trampoline_kernelINS0_14default_configENS1_29reduce_by_key_config_selectorIifN6thrust23THRUST_200600_302600_NS4plusIfEEEEZZNS1_33reduce_by_key_impl_wrapped_configILNS1_25lookback_scan_determinismE0ES3_S9_NS6_6detail15normal_iteratorINS6_10device_ptrIiEEEENSD_INSE_IfEEEESG_SI_PmS8_NS6_8equal_toIiEEEE10hipError_tPvRmT2_T3_mT4_T5_T6_T7_T8_P12ihipStream_tbENKUlT_T0_E_clISt17integral_constantIbLb1EES12_IbLb0EEEEDaSY_SZ_EUlSY_E_NS1_11comp_targetILNS1_3genE3ELNS1_11target_archE908ELNS1_3gpuE7ELNS1_3repE0EEENS1_30default_config_static_selectorELNS0_4arch9wavefront6targetE0EEEvT1_.uses_vcc, 0
	.set _ZN7rocprim17ROCPRIM_400000_NS6detail17trampoline_kernelINS0_14default_configENS1_29reduce_by_key_config_selectorIifN6thrust23THRUST_200600_302600_NS4plusIfEEEEZZNS1_33reduce_by_key_impl_wrapped_configILNS1_25lookback_scan_determinismE0ES3_S9_NS6_6detail15normal_iteratorINS6_10device_ptrIiEEEENSD_INSE_IfEEEESG_SI_PmS8_NS6_8equal_toIiEEEE10hipError_tPvRmT2_T3_mT4_T5_T6_T7_T8_P12ihipStream_tbENKUlT_T0_E_clISt17integral_constantIbLb1EES12_IbLb0EEEEDaSY_SZ_EUlSY_E_NS1_11comp_targetILNS1_3genE3ELNS1_11target_archE908ELNS1_3gpuE7ELNS1_3repE0EEENS1_30default_config_static_selectorELNS0_4arch9wavefront6targetE0EEEvT1_.uses_flat_scratch, 0
	.set _ZN7rocprim17ROCPRIM_400000_NS6detail17trampoline_kernelINS0_14default_configENS1_29reduce_by_key_config_selectorIifN6thrust23THRUST_200600_302600_NS4plusIfEEEEZZNS1_33reduce_by_key_impl_wrapped_configILNS1_25lookback_scan_determinismE0ES3_S9_NS6_6detail15normal_iteratorINS6_10device_ptrIiEEEENSD_INSE_IfEEEESG_SI_PmS8_NS6_8equal_toIiEEEE10hipError_tPvRmT2_T3_mT4_T5_T6_T7_T8_P12ihipStream_tbENKUlT_T0_E_clISt17integral_constantIbLb1EES12_IbLb0EEEEDaSY_SZ_EUlSY_E_NS1_11comp_targetILNS1_3genE3ELNS1_11target_archE908ELNS1_3gpuE7ELNS1_3repE0EEENS1_30default_config_static_selectorELNS0_4arch9wavefront6targetE0EEEvT1_.has_dyn_sized_stack, 0
	.set _ZN7rocprim17ROCPRIM_400000_NS6detail17trampoline_kernelINS0_14default_configENS1_29reduce_by_key_config_selectorIifN6thrust23THRUST_200600_302600_NS4plusIfEEEEZZNS1_33reduce_by_key_impl_wrapped_configILNS1_25lookback_scan_determinismE0ES3_S9_NS6_6detail15normal_iteratorINS6_10device_ptrIiEEEENSD_INSE_IfEEEESG_SI_PmS8_NS6_8equal_toIiEEEE10hipError_tPvRmT2_T3_mT4_T5_T6_T7_T8_P12ihipStream_tbENKUlT_T0_E_clISt17integral_constantIbLb1EES12_IbLb0EEEEDaSY_SZ_EUlSY_E_NS1_11comp_targetILNS1_3genE3ELNS1_11target_archE908ELNS1_3gpuE7ELNS1_3repE0EEENS1_30default_config_static_selectorELNS0_4arch9wavefront6targetE0EEEvT1_.has_recursion, 0
	.set _ZN7rocprim17ROCPRIM_400000_NS6detail17trampoline_kernelINS0_14default_configENS1_29reduce_by_key_config_selectorIifN6thrust23THRUST_200600_302600_NS4plusIfEEEEZZNS1_33reduce_by_key_impl_wrapped_configILNS1_25lookback_scan_determinismE0ES3_S9_NS6_6detail15normal_iteratorINS6_10device_ptrIiEEEENSD_INSE_IfEEEESG_SI_PmS8_NS6_8equal_toIiEEEE10hipError_tPvRmT2_T3_mT4_T5_T6_T7_T8_P12ihipStream_tbENKUlT_T0_E_clISt17integral_constantIbLb1EES12_IbLb0EEEEDaSY_SZ_EUlSY_E_NS1_11comp_targetILNS1_3genE3ELNS1_11target_archE908ELNS1_3gpuE7ELNS1_3repE0EEENS1_30default_config_static_selectorELNS0_4arch9wavefront6targetE0EEEvT1_.has_indirect_call, 0
	.section	.AMDGPU.csdata,"",@progbits
; Kernel info:
; codeLenInByte = 0
; TotalNumSgprs: 0
; NumVgprs: 0
; ScratchSize: 0
; MemoryBound: 0
; FloatMode: 240
; IeeeMode: 1
; LDSByteSize: 0 bytes/workgroup (compile time only)
; SGPRBlocks: 0
; VGPRBlocks: 0
; NumSGPRsForWavesPerEU: 1
; NumVGPRsForWavesPerEU: 1
; Occupancy: 16
; WaveLimiterHint : 0
; COMPUTE_PGM_RSRC2:SCRATCH_EN: 0
; COMPUTE_PGM_RSRC2:USER_SGPR: 6
; COMPUTE_PGM_RSRC2:TRAP_HANDLER: 0
; COMPUTE_PGM_RSRC2:TGID_X_EN: 1
; COMPUTE_PGM_RSRC2:TGID_Y_EN: 0
; COMPUTE_PGM_RSRC2:TGID_Z_EN: 0
; COMPUTE_PGM_RSRC2:TIDIG_COMP_CNT: 0
	.section	.text._ZN7rocprim17ROCPRIM_400000_NS6detail17trampoline_kernelINS0_14default_configENS1_29reduce_by_key_config_selectorIifN6thrust23THRUST_200600_302600_NS4plusIfEEEEZZNS1_33reduce_by_key_impl_wrapped_configILNS1_25lookback_scan_determinismE0ES3_S9_NS6_6detail15normal_iteratorINS6_10device_ptrIiEEEENSD_INSE_IfEEEESG_SI_PmS8_NS6_8equal_toIiEEEE10hipError_tPvRmT2_T3_mT4_T5_T6_T7_T8_P12ihipStream_tbENKUlT_T0_E_clISt17integral_constantIbLb1EES12_IbLb0EEEEDaSY_SZ_EUlSY_E_NS1_11comp_targetILNS1_3genE2ELNS1_11target_archE906ELNS1_3gpuE6ELNS1_3repE0EEENS1_30default_config_static_selectorELNS0_4arch9wavefront6targetE0EEEvT1_,"axG",@progbits,_ZN7rocprim17ROCPRIM_400000_NS6detail17trampoline_kernelINS0_14default_configENS1_29reduce_by_key_config_selectorIifN6thrust23THRUST_200600_302600_NS4plusIfEEEEZZNS1_33reduce_by_key_impl_wrapped_configILNS1_25lookback_scan_determinismE0ES3_S9_NS6_6detail15normal_iteratorINS6_10device_ptrIiEEEENSD_INSE_IfEEEESG_SI_PmS8_NS6_8equal_toIiEEEE10hipError_tPvRmT2_T3_mT4_T5_T6_T7_T8_P12ihipStream_tbENKUlT_T0_E_clISt17integral_constantIbLb1EES12_IbLb0EEEEDaSY_SZ_EUlSY_E_NS1_11comp_targetILNS1_3genE2ELNS1_11target_archE906ELNS1_3gpuE6ELNS1_3repE0EEENS1_30default_config_static_selectorELNS0_4arch9wavefront6targetE0EEEvT1_,comdat
	.protected	_ZN7rocprim17ROCPRIM_400000_NS6detail17trampoline_kernelINS0_14default_configENS1_29reduce_by_key_config_selectorIifN6thrust23THRUST_200600_302600_NS4plusIfEEEEZZNS1_33reduce_by_key_impl_wrapped_configILNS1_25lookback_scan_determinismE0ES3_S9_NS6_6detail15normal_iteratorINS6_10device_ptrIiEEEENSD_INSE_IfEEEESG_SI_PmS8_NS6_8equal_toIiEEEE10hipError_tPvRmT2_T3_mT4_T5_T6_T7_T8_P12ihipStream_tbENKUlT_T0_E_clISt17integral_constantIbLb1EES12_IbLb0EEEEDaSY_SZ_EUlSY_E_NS1_11comp_targetILNS1_3genE2ELNS1_11target_archE906ELNS1_3gpuE6ELNS1_3repE0EEENS1_30default_config_static_selectorELNS0_4arch9wavefront6targetE0EEEvT1_ ; -- Begin function _ZN7rocprim17ROCPRIM_400000_NS6detail17trampoline_kernelINS0_14default_configENS1_29reduce_by_key_config_selectorIifN6thrust23THRUST_200600_302600_NS4plusIfEEEEZZNS1_33reduce_by_key_impl_wrapped_configILNS1_25lookback_scan_determinismE0ES3_S9_NS6_6detail15normal_iteratorINS6_10device_ptrIiEEEENSD_INSE_IfEEEESG_SI_PmS8_NS6_8equal_toIiEEEE10hipError_tPvRmT2_T3_mT4_T5_T6_T7_T8_P12ihipStream_tbENKUlT_T0_E_clISt17integral_constantIbLb1EES12_IbLb0EEEEDaSY_SZ_EUlSY_E_NS1_11comp_targetILNS1_3genE2ELNS1_11target_archE906ELNS1_3gpuE6ELNS1_3repE0EEENS1_30default_config_static_selectorELNS0_4arch9wavefront6targetE0EEEvT1_
	.globl	_ZN7rocprim17ROCPRIM_400000_NS6detail17trampoline_kernelINS0_14default_configENS1_29reduce_by_key_config_selectorIifN6thrust23THRUST_200600_302600_NS4plusIfEEEEZZNS1_33reduce_by_key_impl_wrapped_configILNS1_25lookback_scan_determinismE0ES3_S9_NS6_6detail15normal_iteratorINS6_10device_ptrIiEEEENSD_INSE_IfEEEESG_SI_PmS8_NS6_8equal_toIiEEEE10hipError_tPvRmT2_T3_mT4_T5_T6_T7_T8_P12ihipStream_tbENKUlT_T0_E_clISt17integral_constantIbLb1EES12_IbLb0EEEEDaSY_SZ_EUlSY_E_NS1_11comp_targetILNS1_3genE2ELNS1_11target_archE906ELNS1_3gpuE6ELNS1_3repE0EEENS1_30default_config_static_selectorELNS0_4arch9wavefront6targetE0EEEvT1_
	.p2align	8
	.type	_ZN7rocprim17ROCPRIM_400000_NS6detail17trampoline_kernelINS0_14default_configENS1_29reduce_by_key_config_selectorIifN6thrust23THRUST_200600_302600_NS4plusIfEEEEZZNS1_33reduce_by_key_impl_wrapped_configILNS1_25lookback_scan_determinismE0ES3_S9_NS6_6detail15normal_iteratorINS6_10device_ptrIiEEEENSD_INSE_IfEEEESG_SI_PmS8_NS6_8equal_toIiEEEE10hipError_tPvRmT2_T3_mT4_T5_T6_T7_T8_P12ihipStream_tbENKUlT_T0_E_clISt17integral_constantIbLb1EES12_IbLb0EEEEDaSY_SZ_EUlSY_E_NS1_11comp_targetILNS1_3genE2ELNS1_11target_archE906ELNS1_3gpuE6ELNS1_3repE0EEENS1_30default_config_static_selectorELNS0_4arch9wavefront6targetE0EEEvT1_,@function
_ZN7rocprim17ROCPRIM_400000_NS6detail17trampoline_kernelINS0_14default_configENS1_29reduce_by_key_config_selectorIifN6thrust23THRUST_200600_302600_NS4plusIfEEEEZZNS1_33reduce_by_key_impl_wrapped_configILNS1_25lookback_scan_determinismE0ES3_S9_NS6_6detail15normal_iteratorINS6_10device_ptrIiEEEENSD_INSE_IfEEEESG_SI_PmS8_NS6_8equal_toIiEEEE10hipError_tPvRmT2_T3_mT4_T5_T6_T7_T8_P12ihipStream_tbENKUlT_T0_E_clISt17integral_constantIbLb1EES12_IbLb0EEEEDaSY_SZ_EUlSY_E_NS1_11comp_targetILNS1_3genE2ELNS1_11target_archE906ELNS1_3gpuE6ELNS1_3repE0EEENS1_30default_config_static_selectorELNS0_4arch9wavefront6targetE0EEEvT1_: ; @_ZN7rocprim17ROCPRIM_400000_NS6detail17trampoline_kernelINS0_14default_configENS1_29reduce_by_key_config_selectorIifN6thrust23THRUST_200600_302600_NS4plusIfEEEEZZNS1_33reduce_by_key_impl_wrapped_configILNS1_25lookback_scan_determinismE0ES3_S9_NS6_6detail15normal_iteratorINS6_10device_ptrIiEEEENSD_INSE_IfEEEESG_SI_PmS8_NS6_8equal_toIiEEEE10hipError_tPvRmT2_T3_mT4_T5_T6_T7_T8_P12ihipStream_tbENKUlT_T0_E_clISt17integral_constantIbLb1EES12_IbLb0EEEEDaSY_SZ_EUlSY_E_NS1_11comp_targetILNS1_3genE2ELNS1_11target_archE906ELNS1_3gpuE6ELNS1_3repE0EEENS1_30default_config_static_selectorELNS0_4arch9wavefront6targetE0EEEvT1_
; %bb.0:
	.section	.rodata,"a",@progbits
	.p2align	6, 0x0
	.amdhsa_kernel _ZN7rocprim17ROCPRIM_400000_NS6detail17trampoline_kernelINS0_14default_configENS1_29reduce_by_key_config_selectorIifN6thrust23THRUST_200600_302600_NS4plusIfEEEEZZNS1_33reduce_by_key_impl_wrapped_configILNS1_25lookback_scan_determinismE0ES3_S9_NS6_6detail15normal_iteratorINS6_10device_ptrIiEEEENSD_INSE_IfEEEESG_SI_PmS8_NS6_8equal_toIiEEEE10hipError_tPvRmT2_T3_mT4_T5_T6_T7_T8_P12ihipStream_tbENKUlT_T0_E_clISt17integral_constantIbLb1EES12_IbLb0EEEEDaSY_SZ_EUlSY_E_NS1_11comp_targetILNS1_3genE2ELNS1_11target_archE906ELNS1_3gpuE6ELNS1_3repE0EEENS1_30default_config_static_selectorELNS0_4arch9wavefront6targetE0EEEvT1_
		.amdhsa_group_segment_fixed_size 0
		.amdhsa_private_segment_fixed_size 0
		.amdhsa_kernarg_size 120
		.amdhsa_user_sgpr_count 6
		.amdhsa_user_sgpr_private_segment_buffer 1
		.amdhsa_user_sgpr_dispatch_ptr 0
		.amdhsa_user_sgpr_queue_ptr 0
		.amdhsa_user_sgpr_kernarg_segment_ptr 1
		.amdhsa_user_sgpr_dispatch_id 0
		.amdhsa_user_sgpr_flat_scratch_init 0
		.amdhsa_user_sgpr_private_segment_size 0
		.amdhsa_wavefront_size32 1
		.amdhsa_uses_dynamic_stack 0
		.amdhsa_system_sgpr_private_segment_wavefront_offset 0
		.amdhsa_system_sgpr_workgroup_id_x 1
		.amdhsa_system_sgpr_workgroup_id_y 0
		.amdhsa_system_sgpr_workgroup_id_z 0
		.amdhsa_system_sgpr_workgroup_info 0
		.amdhsa_system_vgpr_workitem_id 0
		.amdhsa_next_free_vgpr 1
		.amdhsa_next_free_sgpr 1
		.amdhsa_reserve_vcc 0
		.amdhsa_reserve_flat_scratch 0
		.amdhsa_float_round_mode_32 0
		.amdhsa_float_round_mode_16_64 0
		.amdhsa_float_denorm_mode_32 3
		.amdhsa_float_denorm_mode_16_64 3
		.amdhsa_dx10_clamp 1
		.amdhsa_ieee_mode 1
		.amdhsa_fp16_overflow 0
		.amdhsa_workgroup_processor_mode 1
		.amdhsa_memory_ordered 1
		.amdhsa_forward_progress 1
		.amdhsa_shared_vgpr_count 0
		.amdhsa_exception_fp_ieee_invalid_op 0
		.amdhsa_exception_fp_denorm_src 0
		.amdhsa_exception_fp_ieee_div_zero 0
		.amdhsa_exception_fp_ieee_overflow 0
		.amdhsa_exception_fp_ieee_underflow 0
		.amdhsa_exception_fp_ieee_inexact 0
		.amdhsa_exception_int_div_zero 0
	.end_amdhsa_kernel
	.section	.text._ZN7rocprim17ROCPRIM_400000_NS6detail17trampoline_kernelINS0_14default_configENS1_29reduce_by_key_config_selectorIifN6thrust23THRUST_200600_302600_NS4plusIfEEEEZZNS1_33reduce_by_key_impl_wrapped_configILNS1_25lookback_scan_determinismE0ES3_S9_NS6_6detail15normal_iteratorINS6_10device_ptrIiEEEENSD_INSE_IfEEEESG_SI_PmS8_NS6_8equal_toIiEEEE10hipError_tPvRmT2_T3_mT4_T5_T6_T7_T8_P12ihipStream_tbENKUlT_T0_E_clISt17integral_constantIbLb1EES12_IbLb0EEEEDaSY_SZ_EUlSY_E_NS1_11comp_targetILNS1_3genE2ELNS1_11target_archE906ELNS1_3gpuE6ELNS1_3repE0EEENS1_30default_config_static_selectorELNS0_4arch9wavefront6targetE0EEEvT1_,"axG",@progbits,_ZN7rocprim17ROCPRIM_400000_NS6detail17trampoline_kernelINS0_14default_configENS1_29reduce_by_key_config_selectorIifN6thrust23THRUST_200600_302600_NS4plusIfEEEEZZNS1_33reduce_by_key_impl_wrapped_configILNS1_25lookback_scan_determinismE0ES3_S9_NS6_6detail15normal_iteratorINS6_10device_ptrIiEEEENSD_INSE_IfEEEESG_SI_PmS8_NS6_8equal_toIiEEEE10hipError_tPvRmT2_T3_mT4_T5_T6_T7_T8_P12ihipStream_tbENKUlT_T0_E_clISt17integral_constantIbLb1EES12_IbLb0EEEEDaSY_SZ_EUlSY_E_NS1_11comp_targetILNS1_3genE2ELNS1_11target_archE906ELNS1_3gpuE6ELNS1_3repE0EEENS1_30default_config_static_selectorELNS0_4arch9wavefront6targetE0EEEvT1_,comdat
.Lfunc_end90:
	.size	_ZN7rocprim17ROCPRIM_400000_NS6detail17trampoline_kernelINS0_14default_configENS1_29reduce_by_key_config_selectorIifN6thrust23THRUST_200600_302600_NS4plusIfEEEEZZNS1_33reduce_by_key_impl_wrapped_configILNS1_25lookback_scan_determinismE0ES3_S9_NS6_6detail15normal_iteratorINS6_10device_ptrIiEEEENSD_INSE_IfEEEESG_SI_PmS8_NS6_8equal_toIiEEEE10hipError_tPvRmT2_T3_mT4_T5_T6_T7_T8_P12ihipStream_tbENKUlT_T0_E_clISt17integral_constantIbLb1EES12_IbLb0EEEEDaSY_SZ_EUlSY_E_NS1_11comp_targetILNS1_3genE2ELNS1_11target_archE906ELNS1_3gpuE6ELNS1_3repE0EEENS1_30default_config_static_selectorELNS0_4arch9wavefront6targetE0EEEvT1_, .Lfunc_end90-_ZN7rocprim17ROCPRIM_400000_NS6detail17trampoline_kernelINS0_14default_configENS1_29reduce_by_key_config_selectorIifN6thrust23THRUST_200600_302600_NS4plusIfEEEEZZNS1_33reduce_by_key_impl_wrapped_configILNS1_25lookback_scan_determinismE0ES3_S9_NS6_6detail15normal_iteratorINS6_10device_ptrIiEEEENSD_INSE_IfEEEESG_SI_PmS8_NS6_8equal_toIiEEEE10hipError_tPvRmT2_T3_mT4_T5_T6_T7_T8_P12ihipStream_tbENKUlT_T0_E_clISt17integral_constantIbLb1EES12_IbLb0EEEEDaSY_SZ_EUlSY_E_NS1_11comp_targetILNS1_3genE2ELNS1_11target_archE906ELNS1_3gpuE6ELNS1_3repE0EEENS1_30default_config_static_selectorELNS0_4arch9wavefront6targetE0EEEvT1_
                                        ; -- End function
	.set _ZN7rocprim17ROCPRIM_400000_NS6detail17trampoline_kernelINS0_14default_configENS1_29reduce_by_key_config_selectorIifN6thrust23THRUST_200600_302600_NS4plusIfEEEEZZNS1_33reduce_by_key_impl_wrapped_configILNS1_25lookback_scan_determinismE0ES3_S9_NS6_6detail15normal_iteratorINS6_10device_ptrIiEEEENSD_INSE_IfEEEESG_SI_PmS8_NS6_8equal_toIiEEEE10hipError_tPvRmT2_T3_mT4_T5_T6_T7_T8_P12ihipStream_tbENKUlT_T0_E_clISt17integral_constantIbLb1EES12_IbLb0EEEEDaSY_SZ_EUlSY_E_NS1_11comp_targetILNS1_3genE2ELNS1_11target_archE906ELNS1_3gpuE6ELNS1_3repE0EEENS1_30default_config_static_selectorELNS0_4arch9wavefront6targetE0EEEvT1_.num_vgpr, 0
	.set _ZN7rocprim17ROCPRIM_400000_NS6detail17trampoline_kernelINS0_14default_configENS1_29reduce_by_key_config_selectorIifN6thrust23THRUST_200600_302600_NS4plusIfEEEEZZNS1_33reduce_by_key_impl_wrapped_configILNS1_25lookback_scan_determinismE0ES3_S9_NS6_6detail15normal_iteratorINS6_10device_ptrIiEEEENSD_INSE_IfEEEESG_SI_PmS8_NS6_8equal_toIiEEEE10hipError_tPvRmT2_T3_mT4_T5_T6_T7_T8_P12ihipStream_tbENKUlT_T0_E_clISt17integral_constantIbLb1EES12_IbLb0EEEEDaSY_SZ_EUlSY_E_NS1_11comp_targetILNS1_3genE2ELNS1_11target_archE906ELNS1_3gpuE6ELNS1_3repE0EEENS1_30default_config_static_selectorELNS0_4arch9wavefront6targetE0EEEvT1_.num_agpr, 0
	.set _ZN7rocprim17ROCPRIM_400000_NS6detail17trampoline_kernelINS0_14default_configENS1_29reduce_by_key_config_selectorIifN6thrust23THRUST_200600_302600_NS4plusIfEEEEZZNS1_33reduce_by_key_impl_wrapped_configILNS1_25lookback_scan_determinismE0ES3_S9_NS6_6detail15normal_iteratorINS6_10device_ptrIiEEEENSD_INSE_IfEEEESG_SI_PmS8_NS6_8equal_toIiEEEE10hipError_tPvRmT2_T3_mT4_T5_T6_T7_T8_P12ihipStream_tbENKUlT_T0_E_clISt17integral_constantIbLb1EES12_IbLb0EEEEDaSY_SZ_EUlSY_E_NS1_11comp_targetILNS1_3genE2ELNS1_11target_archE906ELNS1_3gpuE6ELNS1_3repE0EEENS1_30default_config_static_selectorELNS0_4arch9wavefront6targetE0EEEvT1_.numbered_sgpr, 0
	.set _ZN7rocprim17ROCPRIM_400000_NS6detail17trampoline_kernelINS0_14default_configENS1_29reduce_by_key_config_selectorIifN6thrust23THRUST_200600_302600_NS4plusIfEEEEZZNS1_33reduce_by_key_impl_wrapped_configILNS1_25lookback_scan_determinismE0ES3_S9_NS6_6detail15normal_iteratorINS6_10device_ptrIiEEEENSD_INSE_IfEEEESG_SI_PmS8_NS6_8equal_toIiEEEE10hipError_tPvRmT2_T3_mT4_T5_T6_T7_T8_P12ihipStream_tbENKUlT_T0_E_clISt17integral_constantIbLb1EES12_IbLb0EEEEDaSY_SZ_EUlSY_E_NS1_11comp_targetILNS1_3genE2ELNS1_11target_archE906ELNS1_3gpuE6ELNS1_3repE0EEENS1_30default_config_static_selectorELNS0_4arch9wavefront6targetE0EEEvT1_.num_named_barrier, 0
	.set _ZN7rocprim17ROCPRIM_400000_NS6detail17trampoline_kernelINS0_14default_configENS1_29reduce_by_key_config_selectorIifN6thrust23THRUST_200600_302600_NS4plusIfEEEEZZNS1_33reduce_by_key_impl_wrapped_configILNS1_25lookback_scan_determinismE0ES3_S9_NS6_6detail15normal_iteratorINS6_10device_ptrIiEEEENSD_INSE_IfEEEESG_SI_PmS8_NS6_8equal_toIiEEEE10hipError_tPvRmT2_T3_mT4_T5_T6_T7_T8_P12ihipStream_tbENKUlT_T0_E_clISt17integral_constantIbLb1EES12_IbLb0EEEEDaSY_SZ_EUlSY_E_NS1_11comp_targetILNS1_3genE2ELNS1_11target_archE906ELNS1_3gpuE6ELNS1_3repE0EEENS1_30default_config_static_selectorELNS0_4arch9wavefront6targetE0EEEvT1_.private_seg_size, 0
	.set _ZN7rocprim17ROCPRIM_400000_NS6detail17trampoline_kernelINS0_14default_configENS1_29reduce_by_key_config_selectorIifN6thrust23THRUST_200600_302600_NS4plusIfEEEEZZNS1_33reduce_by_key_impl_wrapped_configILNS1_25lookback_scan_determinismE0ES3_S9_NS6_6detail15normal_iteratorINS6_10device_ptrIiEEEENSD_INSE_IfEEEESG_SI_PmS8_NS6_8equal_toIiEEEE10hipError_tPvRmT2_T3_mT4_T5_T6_T7_T8_P12ihipStream_tbENKUlT_T0_E_clISt17integral_constantIbLb1EES12_IbLb0EEEEDaSY_SZ_EUlSY_E_NS1_11comp_targetILNS1_3genE2ELNS1_11target_archE906ELNS1_3gpuE6ELNS1_3repE0EEENS1_30default_config_static_selectorELNS0_4arch9wavefront6targetE0EEEvT1_.uses_vcc, 0
	.set _ZN7rocprim17ROCPRIM_400000_NS6detail17trampoline_kernelINS0_14default_configENS1_29reduce_by_key_config_selectorIifN6thrust23THRUST_200600_302600_NS4plusIfEEEEZZNS1_33reduce_by_key_impl_wrapped_configILNS1_25lookback_scan_determinismE0ES3_S9_NS6_6detail15normal_iteratorINS6_10device_ptrIiEEEENSD_INSE_IfEEEESG_SI_PmS8_NS6_8equal_toIiEEEE10hipError_tPvRmT2_T3_mT4_T5_T6_T7_T8_P12ihipStream_tbENKUlT_T0_E_clISt17integral_constantIbLb1EES12_IbLb0EEEEDaSY_SZ_EUlSY_E_NS1_11comp_targetILNS1_3genE2ELNS1_11target_archE906ELNS1_3gpuE6ELNS1_3repE0EEENS1_30default_config_static_selectorELNS0_4arch9wavefront6targetE0EEEvT1_.uses_flat_scratch, 0
	.set _ZN7rocprim17ROCPRIM_400000_NS6detail17trampoline_kernelINS0_14default_configENS1_29reduce_by_key_config_selectorIifN6thrust23THRUST_200600_302600_NS4plusIfEEEEZZNS1_33reduce_by_key_impl_wrapped_configILNS1_25lookback_scan_determinismE0ES3_S9_NS6_6detail15normal_iteratorINS6_10device_ptrIiEEEENSD_INSE_IfEEEESG_SI_PmS8_NS6_8equal_toIiEEEE10hipError_tPvRmT2_T3_mT4_T5_T6_T7_T8_P12ihipStream_tbENKUlT_T0_E_clISt17integral_constantIbLb1EES12_IbLb0EEEEDaSY_SZ_EUlSY_E_NS1_11comp_targetILNS1_3genE2ELNS1_11target_archE906ELNS1_3gpuE6ELNS1_3repE0EEENS1_30default_config_static_selectorELNS0_4arch9wavefront6targetE0EEEvT1_.has_dyn_sized_stack, 0
	.set _ZN7rocprim17ROCPRIM_400000_NS6detail17trampoline_kernelINS0_14default_configENS1_29reduce_by_key_config_selectorIifN6thrust23THRUST_200600_302600_NS4plusIfEEEEZZNS1_33reduce_by_key_impl_wrapped_configILNS1_25lookback_scan_determinismE0ES3_S9_NS6_6detail15normal_iteratorINS6_10device_ptrIiEEEENSD_INSE_IfEEEESG_SI_PmS8_NS6_8equal_toIiEEEE10hipError_tPvRmT2_T3_mT4_T5_T6_T7_T8_P12ihipStream_tbENKUlT_T0_E_clISt17integral_constantIbLb1EES12_IbLb0EEEEDaSY_SZ_EUlSY_E_NS1_11comp_targetILNS1_3genE2ELNS1_11target_archE906ELNS1_3gpuE6ELNS1_3repE0EEENS1_30default_config_static_selectorELNS0_4arch9wavefront6targetE0EEEvT1_.has_recursion, 0
	.set _ZN7rocprim17ROCPRIM_400000_NS6detail17trampoline_kernelINS0_14default_configENS1_29reduce_by_key_config_selectorIifN6thrust23THRUST_200600_302600_NS4plusIfEEEEZZNS1_33reduce_by_key_impl_wrapped_configILNS1_25lookback_scan_determinismE0ES3_S9_NS6_6detail15normal_iteratorINS6_10device_ptrIiEEEENSD_INSE_IfEEEESG_SI_PmS8_NS6_8equal_toIiEEEE10hipError_tPvRmT2_T3_mT4_T5_T6_T7_T8_P12ihipStream_tbENKUlT_T0_E_clISt17integral_constantIbLb1EES12_IbLb0EEEEDaSY_SZ_EUlSY_E_NS1_11comp_targetILNS1_3genE2ELNS1_11target_archE906ELNS1_3gpuE6ELNS1_3repE0EEENS1_30default_config_static_selectorELNS0_4arch9wavefront6targetE0EEEvT1_.has_indirect_call, 0
	.section	.AMDGPU.csdata,"",@progbits
; Kernel info:
; codeLenInByte = 0
; TotalNumSgprs: 0
; NumVgprs: 0
; ScratchSize: 0
; MemoryBound: 0
; FloatMode: 240
; IeeeMode: 1
; LDSByteSize: 0 bytes/workgroup (compile time only)
; SGPRBlocks: 0
; VGPRBlocks: 0
; NumSGPRsForWavesPerEU: 1
; NumVGPRsForWavesPerEU: 1
; Occupancy: 16
; WaveLimiterHint : 0
; COMPUTE_PGM_RSRC2:SCRATCH_EN: 0
; COMPUTE_PGM_RSRC2:USER_SGPR: 6
; COMPUTE_PGM_RSRC2:TRAP_HANDLER: 0
; COMPUTE_PGM_RSRC2:TGID_X_EN: 1
; COMPUTE_PGM_RSRC2:TGID_Y_EN: 0
; COMPUTE_PGM_RSRC2:TGID_Z_EN: 0
; COMPUTE_PGM_RSRC2:TIDIG_COMP_CNT: 0
	.section	.text._ZN7rocprim17ROCPRIM_400000_NS6detail17trampoline_kernelINS0_14default_configENS1_29reduce_by_key_config_selectorIifN6thrust23THRUST_200600_302600_NS4plusIfEEEEZZNS1_33reduce_by_key_impl_wrapped_configILNS1_25lookback_scan_determinismE0ES3_S9_NS6_6detail15normal_iteratorINS6_10device_ptrIiEEEENSD_INSE_IfEEEESG_SI_PmS8_NS6_8equal_toIiEEEE10hipError_tPvRmT2_T3_mT4_T5_T6_T7_T8_P12ihipStream_tbENKUlT_T0_E_clISt17integral_constantIbLb1EES12_IbLb0EEEEDaSY_SZ_EUlSY_E_NS1_11comp_targetILNS1_3genE10ELNS1_11target_archE1201ELNS1_3gpuE5ELNS1_3repE0EEENS1_30default_config_static_selectorELNS0_4arch9wavefront6targetE0EEEvT1_,"axG",@progbits,_ZN7rocprim17ROCPRIM_400000_NS6detail17trampoline_kernelINS0_14default_configENS1_29reduce_by_key_config_selectorIifN6thrust23THRUST_200600_302600_NS4plusIfEEEEZZNS1_33reduce_by_key_impl_wrapped_configILNS1_25lookback_scan_determinismE0ES3_S9_NS6_6detail15normal_iteratorINS6_10device_ptrIiEEEENSD_INSE_IfEEEESG_SI_PmS8_NS6_8equal_toIiEEEE10hipError_tPvRmT2_T3_mT4_T5_T6_T7_T8_P12ihipStream_tbENKUlT_T0_E_clISt17integral_constantIbLb1EES12_IbLb0EEEEDaSY_SZ_EUlSY_E_NS1_11comp_targetILNS1_3genE10ELNS1_11target_archE1201ELNS1_3gpuE5ELNS1_3repE0EEENS1_30default_config_static_selectorELNS0_4arch9wavefront6targetE0EEEvT1_,comdat
	.protected	_ZN7rocprim17ROCPRIM_400000_NS6detail17trampoline_kernelINS0_14default_configENS1_29reduce_by_key_config_selectorIifN6thrust23THRUST_200600_302600_NS4plusIfEEEEZZNS1_33reduce_by_key_impl_wrapped_configILNS1_25lookback_scan_determinismE0ES3_S9_NS6_6detail15normal_iteratorINS6_10device_ptrIiEEEENSD_INSE_IfEEEESG_SI_PmS8_NS6_8equal_toIiEEEE10hipError_tPvRmT2_T3_mT4_T5_T6_T7_T8_P12ihipStream_tbENKUlT_T0_E_clISt17integral_constantIbLb1EES12_IbLb0EEEEDaSY_SZ_EUlSY_E_NS1_11comp_targetILNS1_3genE10ELNS1_11target_archE1201ELNS1_3gpuE5ELNS1_3repE0EEENS1_30default_config_static_selectorELNS0_4arch9wavefront6targetE0EEEvT1_ ; -- Begin function _ZN7rocprim17ROCPRIM_400000_NS6detail17trampoline_kernelINS0_14default_configENS1_29reduce_by_key_config_selectorIifN6thrust23THRUST_200600_302600_NS4plusIfEEEEZZNS1_33reduce_by_key_impl_wrapped_configILNS1_25lookback_scan_determinismE0ES3_S9_NS6_6detail15normal_iteratorINS6_10device_ptrIiEEEENSD_INSE_IfEEEESG_SI_PmS8_NS6_8equal_toIiEEEE10hipError_tPvRmT2_T3_mT4_T5_T6_T7_T8_P12ihipStream_tbENKUlT_T0_E_clISt17integral_constantIbLb1EES12_IbLb0EEEEDaSY_SZ_EUlSY_E_NS1_11comp_targetILNS1_3genE10ELNS1_11target_archE1201ELNS1_3gpuE5ELNS1_3repE0EEENS1_30default_config_static_selectorELNS0_4arch9wavefront6targetE0EEEvT1_
	.globl	_ZN7rocprim17ROCPRIM_400000_NS6detail17trampoline_kernelINS0_14default_configENS1_29reduce_by_key_config_selectorIifN6thrust23THRUST_200600_302600_NS4plusIfEEEEZZNS1_33reduce_by_key_impl_wrapped_configILNS1_25lookback_scan_determinismE0ES3_S9_NS6_6detail15normal_iteratorINS6_10device_ptrIiEEEENSD_INSE_IfEEEESG_SI_PmS8_NS6_8equal_toIiEEEE10hipError_tPvRmT2_T3_mT4_T5_T6_T7_T8_P12ihipStream_tbENKUlT_T0_E_clISt17integral_constantIbLb1EES12_IbLb0EEEEDaSY_SZ_EUlSY_E_NS1_11comp_targetILNS1_3genE10ELNS1_11target_archE1201ELNS1_3gpuE5ELNS1_3repE0EEENS1_30default_config_static_selectorELNS0_4arch9wavefront6targetE0EEEvT1_
	.p2align	8
	.type	_ZN7rocprim17ROCPRIM_400000_NS6detail17trampoline_kernelINS0_14default_configENS1_29reduce_by_key_config_selectorIifN6thrust23THRUST_200600_302600_NS4plusIfEEEEZZNS1_33reduce_by_key_impl_wrapped_configILNS1_25lookback_scan_determinismE0ES3_S9_NS6_6detail15normal_iteratorINS6_10device_ptrIiEEEENSD_INSE_IfEEEESG_SI_PmS8_NS6_8equal_toIiEEEE10hipError_tPvRmT2_T3_mT4_T5_T6_T7_T8_P12ihipStream_tbENKUlT_T0_E_clISt17integral_constantIbLb1EES12_IbLb0EEEEDaSY_SZ_EUlSY_E_NS1_11comp_targetILNS1_3genE10ELNS1_11target_archE1201ELNS1_3gpuE5ELNS1_3repE0EEENS1_30default_config_static_selectorELNS0_4arch9wavefront6targetE0EEEvT1_,@function
_ZN7rocprim17ROCPRIM_400000_NS6detail17trampoline_kernelINS0_14default_configENS1_29reduce_by_key_config_selectorIifN6thrust23THRUST_200600_302600_NS4plusIfEEEEZZNS1_33reduce_by_key_impl_wrapped_configILNS1_25lookback_scan_determinismE0ES3_S9_NS6_6detail15normal_iteratorINS6_10device_ptrIiEEEENSD_INSE_IfEEEESG_SI_PmS8_NS6_8equal_toIiEEEE10hipError_tPvRmT2_T3_mT4_T5_T6_T7_T8_P12ihipStream_tbENKUlT_T0_E_clISt17integral_constantIbLb1EES12_IbLb0EEEEDaSY_SZ_EUlSY_E_NS1_11comp_targetILNS1_3genE10ELNS1_11target_archE1201ELNS1_3gpuE5ELNS1_3repE0EEENS1_30default_config_static_selectorELNS0_4arch9wavefront6targetE0EEEvT1_: ; @_ZN7rocprim17ROCPRIM_400000_NS6detail17trampoline_kernelINS0_14default_configENS1_29reduce_by_key_config_selectorIifN6thrust23THRUST_200600_302600_NS4plusIfEEEEZZNS1_33reduce_by_key_impl_wrapped_configILNS1_25lookback_scan_determinismE0ES3_S9_NS6_6detail15normal_iteratorINS6_10device_ptrIiEEEENSD_INSE_IfEEEESG_SI_PmS8_NS6_8equal_toIiEEEE10hipError_tPvRmT2_T3_mT4_T5_T6_T7_T8_P12ihipStream_tbENKUlT_T0_E_clISt17integral_constantIbLb1EES12_IbLb0EEEEDaSY_SZ_EUlSY_E_NS1_11comp_targetILNS1_3genE10ELNS1_11target_archE1201ELNS1_3gpuE5ELNS1_3repE0EEENS1_30default_config_static_selectorELNS0_4arch9wavefront6targetE0EEEvT1_
; %bb.0:
	.section	.rodata,"a",@progbits
	.p2align	6, 0x0
	.amdhsa_kernel _ZN7rocprim17ROCPRIM_400000_NS6detail17trampoline_kernelINS0_14default_configENS1_29reduce_by_key_config_selectorIifN6thrust23THRUST_200600_302600_NS4plusIfEEEEZZNS1_33reduce_by_key_impl_wrapped_configILNS1_25lookback_scan_determinismE0ES3_S9_NS6_6detail15normal_iteratorINS6_10device_ptrIiEEEENSD_INSE_IfEEEESG_SI_PmS8_NS6_8equal_toIiEEEE10hipError_tPvRmT2_T3_mT4_T5_T6_T7_T8_P12ihipStream_tbENKUlT_T0_E_clISt17integral_constantIbLb1EES12_IbLb0EEEEDaSY_SZ_EUlSY_E_NS1_11comp_targetILNS1_3genE10ELNS1_11target_archE1201ELNS1_3gpuE5ELNS1_3repE0EEENS1_30default_config_static_selectorELNS0_4arch9wavefront6targetE0EEEvT1_
		.amdhsa_group_segment_fixed_size 0
		.amdhsa_private_segment_fixed_size 0
		.amdhsa_kernarg_size 120
		.amdhsa_user_sgpr_count 6
		.amdhsa_user_sgpr_private_segment_buffer 1
		.amdhsa_user_sgpr_dispatch_ptr 0
		.amdhsa_user_sgpr_queue_ptr 0
		.amdhsa_user_sgpr_kernarg_segment_ptr 1
		.amdhsa_user_sgpr_dispatch_id 0
		.amdhsa_user_sgpr_flat_scratch_init 0
		.amdhsa_user_sgpr_private_segment_size 0
		.amdhsa_wavefront_size32 1
		.amdhsa_uses_dynamic_stack 0
		.amdhsa_system_sgpr_private_segment_wavefront_offset 0
		.amdhsa_system_sgpr_workgroup_id_x 1
		.amdhsa_system_sgpr_workgroup_id_y 0
		.amdhsa_system_sgpr_workgroup_id_z 0
		.amdhsa_system_sgpr_workgroup_info 0
		.amdhsa_system_vgpr_workitem_id 0
		.amdhsa_next_free_vgpr 1
		.amdhsa_next_free_sgpr 1
		.amdhsa_reserve_vcc 0
		.amdhsa_reserve_flat_scratch 0
		.amdhsa_float_round_mode_32 0
		.amdhsa_float_round_mode_16_64 0
		.amdhsa_float_denorm_mode_32 3
		.amdhsa_float_denorm_mode_16_64 3
		.amdhsa_dx10_clamp 1
		.amdhsa_ieee_mode 1
		.amdhsa_fp16_overflow 0
		.amdhsa_workgroup_processor_mode 1
		.amdhsa_memory_ordered 1
		.amdhsa_forward_progress 1
		.amdhsa_shared_vgpr_count 0
		.amdhsa_exception_fp_ieee_invalid_op 0
		.amdhsa_exception_fp_denorm_src 0
		.amdhsa_exception_fp_ieee_div_zero 0
		.amdhsa_exception_fp_ieee_overflow 0
		.amdhsa_exception_fp_ieee_underflow 0
		.amdhsa_exception_fp_ieee_inexact 0
		.amdhsa_exception_int_div_zero 0
	.end_amdhsa_kernel
	.section	.text._ZN7rocprim17ROCPRIM_400000_NS6detail17trampoline_kernelINS0_14default_configENS1_29reduce_by_key_config_selectorIifN6thrust23THRUST_200600_302600_NS4plusIfEEEEZZNS1_33reduce_by_key_impl_wrapped_configILNS1_25lookback_scan_determinismE0ES3_S9_NS6_6detail15normal_iteratorINS6_10device_ptrIiEEEENSD_INSE_IfEEEESG_SI_PmS8_NS6_8equal_toIiEEEE10hipError_tPvRmT2_T3_mT4_T5_T6_T7_T8_P12ihipStream_tbENKUlT_T0_E_clISt17integral_constantIbLb1EES12_IbLb0EEEEDaSY_SZ_EUlSY_E_NS1_11comp_targetILNS1_3genE10ELNS1_11target_archE1201ELNS1_3gpuE5ELNS1_3repE0EEENS1_30default_config_static_selectorELNS0_4arch9wavefront6targetE0EEEvT1_,"axG",@progbits,_ZN7rocprim17ROCPRIM_400000_NS6detail17trampoline_kernelINS0_14default_configENS1_29reduce_by_key_config_selectorIifN6thrust23THRUST_200600_302600_NS4plusIfEEEEZZNS1_33reduce_by_key_impl_wrapped_configILNS1_25lookback_scan_determinismE0ES3_S9_NS6_6detail15normal_iteratorINS6_10device_ptrIiEEEENSD_INSE_IfEEEESG_SI_PmS8_NS6_8equal_toIiEEEE10hipError_tPvRmT2_T3_mT4_T5_T6_T7_T8_P12ihipStream_tbENKUlT_T0_E_clISt17integral_constantIbLb1EES12_IbLb0EEEEDaSY_SZ_EUlSY_E_NS1_11comp_targetILNS1_3genE10ELNS1_11target_archE1201ELNS1_3gpuE5ELNS1_3repE0EEENS1_30default_config_static_selectorELNS0_4arch9wavefront6targetE0EEEvT1_,comdat
.Lfunc_end91:
	.size	_ZN7rocprim17ROCPRIM_400000_NS6detail17trampoline_kernelINS0_14default_configENS1_29reduce_by_key_config_selectorIifN6thrust23THRUST_200600_302600_NS4plusIfEEEEZZNS1_33reduce_by_key_impl_wrapped_configILNS1_25lookback_scan_determinismE0ES3_S9_NS6_6detail15normal_iteratorINS6_10device_ptrIiEEEENSD_INSE_IfEEEESG_SI_PmS8_NS6_8equal_toIiEEEE10hipError_tPvRmT2_T3_mT4_T5_T6_T7_T8_P12ihipStream_tbENKUlT_T0_E_clISt17integral_constantIbLb1EES12_IbLb0EEEEDaSY_SZ_EUlSY_E_NS1_11comp_targetILNS1_3genE10ELNS1_11target_archE1201ELNS1_3gpuE5ELNS1_3repE0EEENS1_30default_config_static_selectorELNS0_4arch9wavefront6targetE0EEEvT1_, .Lfunc_end91-_ZN7rocprim17ROCPRIM_400000_NS6detail17trampoline_kernelINS0_14default_configENS1_29reduce_by_key_config_selectorIifN6thrust23THRUST_200600_302600_NS4plusIfEEEEZZNS1_33reduce_by_key_impl_wrapped_configILNS1_25lookback_scan_determinismE0ES3_S9_NS6_6detail15normal_iteratorINS6_10device_ptrIiEEEENSD_INSE_IfEEEESG_SI_PmS8_NS6_8equal_toIiEEEE10hipError_tPvRmT2_T3_mT4_T5_T6_T7_T8_P12ihipStream_tbENKUlT_T0_E_clISt17integral_constantIbLb1EES12_IbLb0EEEEDaSY_SZ_EUlSY_E_NS1_11comp_targetILNS1_3genE10ELNS1_11target_archE1201ELNS1_3gpuE5ELNS1_3repE0EEENS1_30default_config_static_selectorELNS0_4arch9wavefront6targetE0EEEvT1_
                                        ; -- End function
	.set _ZN7rocprim17ROCPRIM_400000_NS6detail17trampoline_kernelINS0_14default_configENS1_29reduce_by_key_config_selectorIifN6thrust23THRUST_200600_302600_NS4plusIfEEEEZZNS1_33reduce_by_key_impl_wrapped_configILNS1_25lookback_scan_determinismE0ES3_S9_NS6_6detail15normal_iteratorINS6_10device_ptrIiEEEENSD_INSE_IfEEEESG_SI_PmS8_NS6_8equal_toIiEEEE10hipError_tPvRmT2_T3_mT4_T5_T6_T7_T8_P12ihipStream_tbENKUlT_T0_E_clISt17integral_constantIbLb1EES12_IbLb0EEEEDaSY_SZ_EUlSY_E_NS1_11comp_targetILNS1_3genE10ELNS1_11target_archE1201ELNS1_3gpuE5ELNS1_3repE0EEENS1_30default_config_static_selectorELNS0_4arch9wavefront6targetE0EEEvT1_.num_vgpr, 0
	.set _ZN7rocprim17ROCPRIM_400000_NS6detail17trampoline_kernelINS0_14default_configENS1_29reduce_by_key_config_selectorIifN6thrust23THRUST_200600_302600_NS4plusIfEEEEZZNS1_33reduce_by_key_impl_wrapped_configILNS1_25lookback_scan_determinismE0ES3_S9_NS6_6detail15normal_iteratorINS6_10device_ptrIiEEEENSD_INSE_IfEEEESG_SI_PmS8_NS6_8equal_toIiEEEE10hipError_tPvRmT2_T3_mT4_T5_T6_T7_T8_P12ihipStream_tbENKUlT_T0_E_clISt17integral_constantIbLb1EES12_IbLb0EEEEDaSY_SZ_EUlSY_E_NS1_11comp_targetILNS1_3genE10ELNS1_11target_archE1201ELNS1_3gpuE5ELNS1_3repE0EEENS1_30default_config_static_selectorELNS0_4arch9wavefront6targetE0EEEvT1_.num_agpr, 0
	.set _ZN7rocprim17ROCPRIM_400000_NS6detail17trampoline_kernelINS0_14default_configENS1_29reduce_by_key_config_selectorIifN6thrust23THRUST_200600_302600_NS4plusIfEEEEZZNS1_33reduce_by_key_impl_wrapped_configILNS1_25lookback_scan_determinismE0ES3_S9_NS6_6detail15normal_iteratorINS6_10device_ptrIiEEEENSD_INSE_IfEEEESG_SI_PmS8_NS6_8equal_toIiEEEE10hipError_tPvRmT2_T3_mT4_T5_T6_T7_T8_P12ihipStream_tbENKUlT_T0_E_clISt17integral_constantIbLb1EES12_IbLb0EEEEDaSY_SZ_EUlSY_E_NS1_11comp_targetILNS1_3genE10ELNS1_11target_archE1201ELNS1_3gpuE5ELNS1_3repE0EEENS1_30default_config_static_selectorELNS0_4arch9wavefront6targetE0EEEvT1_.numbered_sgpr, 0
	.set _ZN7rocprim17ROCPRIM_400000_NS6detail17trampoline_kernelINS0_14default_configENS1_29reduce_by_key_config_selectorIifN6thrust23THRUST_200600_302600_NS4plusIfEEEEZZNS1_33reduce_by_key_impl_wrapped_configILNS1_25lookback_scan_determinismE0ES3_S9_NS6_6detail15normal_iteratorINS6_10device_ptrIiEEEENSD_INSE_IfEEEESG_SI_PmS8_NS6_8equal_toIiEEEE10hipError_tPvRmT2_T3_mT4_T5_T6_T7_T8_P12ihipStream_tbENKUlT_T0_E_clISt17integral_constantIbLb1EES12_IbLb0EEEEDaSY_SZ_EUlSY_E_NS1_11comp_targetILNS1_3genE10ELNS1_11target_archE1201ELNS1_3gpuE5ELNS1_3repE0EEENS1_30default_config_static_selectorELNS0_4arch9wavefront6targetE0EEEvT1_.num_named_barrier, 0
	.set _ZN7rocprim17ROCPRIM_400000_NS6detail17trampoline_kernelINS0_14default_configENS1_29reduce_by_key_config_selectorIifN6thrust23THRUST_200600_302600_NS4plusIfEEEEZZNS1_33reduce_by_key_impl_wrapped_configILNS1_25lookback_scan_determinismE0ES3_S9_NS6_6detail15normal_iteratorINS6_10device_ptrIiEEEENSD_INSE_IfEEEESG_SI_PmS8_NS6_8equal_toIiEEEE10hipError_tPvRmT2_T3_mT4_T5_T6_T7_T8_P12ihipStream_tbENKUlT_T0_E_clISt17integral_constantIbLb1EES12_IbLb0EEEEDaSY_SZ_EUlSY_E_NS1_11comp_targetILNS1_3genE10ELNS1_11target_archE1201ELNS1_3gpuE5ELNS1_3repE0EEENS1_30default_config_static_selectorELNS0_4arch9wavefront6targetE0EEEvT1_.private_seg_size, 0
	.set _ZN7rocprim17ROCPRIM_400000_NS6detail17trampoline_kernelINS0_14default_configENS1_29reduce_by_key_config_selectorIifN6thrust23THRUST_200600_302600_NS4plusIfEEEEZZNS1_33reduce_by_key_impl_wrapped_configILNS1_25lookback_scan_determinismE0ES3_S9_NS6_6detail15normal_iteratorINS6_10device_ptrIiEEEENSD_INSE_IfEEEESG_SI_PmS8_NS6_8equal_toIiEEEE10hipError_tPvRmT2_T3_mT4_T5_T6_T7_T8_P12ihipStream_tbENKUlT_T0_E_clISt17integral_constantIbLb1EES12_IbLb0EEEEDaSY_SZ_EUlSY_E_NS1_11comp_targetILNS1_3genE10ELNS1_11target_archE1201ELNS1_3gpuE5ELNS1_3repE0EEENS1_30default_config_static_selectorELNS0_4arch9wavefront6targetE0EEEvT1_.uses_vcc, 0
	.set _ZN7rocprim17ROCPRIM_400000_NS6detail17trampoline_kernelINS0_14default_configENS1_29reduce_by_key_config_selectorIifN6thrust23THRUST_200600_302600_NS4plusIfEEEEZZNS1_33reduce_by_key_impl_wrapped_configILNS1_25lookback_scan_determinismE0ES3_S9_NS6_6detail15normal_iteratorINS6_10device_ptrIiEEEENSD_INSE_IfEEEESG_SI_PmS8_NS6_8equal_toIiEEEE10hipError_tPvRmT2_T3_mT4_T5_T6_T7_T8_P12ihipStream_tbENKUlT_T0_E_clISt17integral_constantIbLb1EES12_IbLb0EEEEDaSY_SZ_EUlSY_E_NS1_11comp_targetILNS1_3genE10ELNS1_11target_archE1201ELNS1_3gpuE5ELNS1_3repE0EEENS1_30default_config_static_selectorELNS0_4arch9wavefront6targetE0EEEvT1_.uses_flat_scratch, 0
	.set _ZN7rocprim17ROCPRIM_400000_NS6detail17trampoline_kernelINS0_14default_configENS1_29reduce_by_key_config_selectorIifN6thrust23THRUST_200600_302600_NS4plusIfEEEEZZNS1_33reduce_by_key_impl_wrapped_configILNS1_25lookback_scan_determinismE0ES3_S9_NS6_6detail15normal_iteratorINS6_10device_ptrIiEEEENSD_INSE_IfEEEESG_SI_PmS8_NS6_8equal_toIiEEEE10hipError_tPvRmT2_T3_mT4_T5_T6_T7_T8_P12ihipStream_tbENKUlT_T0_E_clISt17integral_constantIbLb1EES12_IbLb0EEEEDaSY_SZ_EUlSY_E_NS1_11comp_targetILNS1_3genE10ELNS1_11target_archE1201ELNS1_3gpuE5ELNS1_3repE0EEENS1_30default_config_static_selectorELNS0_4arch9wavefront6targetE0EEEvT1_.has_dyn_sized_stack, 0
	.set _ZN7rocprim17ROCPRIM_400000_NS6detail17trampoline_kernelINS0_14default_configENS1_29reduce_by_key_config_selectorIifN6thrust23THRUST_200600_302600_NS4plusIfEEEEZZNS1_33reduce_by_key_impl_wrapped_configILNS1_25lookback_scan_determinismE0ES3_S9_NS6_6detail15normal_iteratorINS6_10device_ptrIiEEEENSD_INSE_IfEEEESG_SI_PmS8_NS6_8equal_toIiEEEE10hipError_tPvRmT2_T3_mT4_T5_T6_T7_T8_P12ihipStream_tbENKUlT_T0_E_clISt17integral_constantIbLb1EES12_IbLb0EEEEDaSY_SZ_EUlSY_E_NS1_11comp_targetILNS1_3genE10ELNS1_11target_archE1201ELNS1_3gpuE5ELNS1_3repE0EEENS1_30default_config_static_selectorELNS0_4arch9wavefront6targetE0EEEvT1_.has_recursion, 0
	.set _ZN7rocprim17ROCPRIM_400000_NS6detail17trampoline_kernelINS0_14default_configENS1_29reduce_by_key_config_selectorIifN6thrust23THRUST_200600_302600_NS4plusIfEEEEZZNS1_33reduce_by_key_impl_wrapped_configILNS1_25lookback_scan_determinismE0ES3_S9_NS6_6detail15normal_iteratorINS6_10device_ptrIiEEEENSD_INSE_IfEEEESG_SI_PmS8_NS6_8equal_toIiEEEE10hipError_tPvRmT2_T3_mT4_T5_T6_T7_T8_P12ihipStream_tbENKUlT_T0_E_clISt17integral_constantIbLb1EES12_IbLb0EEEEDaSY_SZ_EUlSY_E_NS1_11comp_targetILNS1_3genE10ELNS1_11target_archE1201ELNS1_3gpuE5ELNS1_3repE0EEENS1_30default_config_static_selectorELNS0_4arch9wavefront6targetE0EEEvT1_.has_indirect_call, 0
	.section	.AMDGPU.csdata,"",@progbits
; Kernel info:
; codeLenInByte = 0
; TotalNumSgprs: 0
; NumVgprs: 0
; ScratchSize: 0
; MemoryBound: 0
; FloatMode: 240
; IeeeMode: 1
; LDSByteSize: 0 bytes/workgroup (compile time only)
; SGPRBlocks: 0
; VGPRBlocks: 0
; NumSGPRsForWavesPerEU: 1
; NumVGPRsForWavesPerEU: 1
; Occupancy: 16
; WaveLimiterHint : 0
; COMPUTE_PGM_RSRC2:SCRATCH_EN: 0
; COMPUTE_PGM_RSRC2:USER_SGPR: 6
; COMPUTE_PGM_RSRC2:TRAP_HANDLER: 0
; COMPUTE_PGM_RSRC2:TGID_X_EN: 1
; COMPUTE_PGM_RSRC2:TGID_Y_EN: 0
; COMPUTE_PGM_RSRC2:TGID_Z_EN: 0
; COMPUTE_PGM_RSRC2:TIDIG_COMP_CNT: 0
	.section	.text._ZN7rocprim17ROCPRIM_400000_NS6detail17trampoline_kernelINS0_14default_configENS1_29reduce_by_key_config_selectorIifN6thrust23THRUST_200600_302600_NS4plusIfEEEEZZNS1_33reduce_by_key_impl_wrapped_configILNS1_25lookback_scan_determinismE0ES3_S9_NS6_6detail15normal_iteratorINS6_10device_ptrIiEEEENSD_INSE_IfEEEESG_SI_PmS8_NS6_8equal_toIiEEEE10hipError_tPvRmT2_T3_mT4_T5_T6_T7_T8_P12ihipStream_tbENKUlT_T0_E_clISt17integral_constantIbLb1EES12_IbLb0EEEEDaSY_SZ_EUlSY_E_NS1_11comp_targetILNS1_3genE10ELNS1_11target_archE1200ELNS1_3gpuE4ELNS1_3repE0EEENS1_30default_config_static_selectorELNS0_4arch9wavefront6targetE0EEEvT1_,"axG",@progbits,_ZN7rocprim17ROCPRIM_400000_NS6detail17trampoline_kernelINS0_14default_configENS1_29reduce_by_key_config_selectorIifN6thrust23THRUST_200600_302600_NS4plusIfEEEEZZNS1_33reduce_by_key_impl_wrapped_configILNS1_25lookback_scan_determinismE0ES3_S9_NS6_6detail15normal_iteratorINS6_10device_ptrIiEEEENSD_INSE_IfEEEESG_SI_PmS8_NS6_8equal_toIiEEEE10hipError_tPvRmT2_T3_mT4_T5_T6_T7_T8_P12ihipStream_tbENKUlT_T0_E_clISt17integral_constantIbLb1EES12_IbLb0EEEEDaSY_SZ_EUlSY_E_NS1_11comp_targetILNS1_3genE10ELNS1_11target_archE1200ELNS1_3gpuE4ELNS1_3repE0EEENS1_30default_config_static_selectorELNS0_4arch9wavefront6targetE0EEEvT1_,comdat
	.protected	_ZN7rocprim17ROCPRIM_400000_NS6detail17trampoline_kernelINS0_14default_configENS1_29reduce_by_key_config_selectorIifN6thrust23THRUST_200600_302600_NS4plusIfEEEEZZNS1_33reduce_by_key_impl_wrapped_configILNS1_25lookback_scan_determinismE0ES3_S9_NS6_6detail15normal_iteratorINS6_10device_ptrIiEEEENSD_INSE_IfEEEESG_SI_PmS8_NS6_8equal_toIiEEEE10hipError_tPvRmT2_T3_mT4_T5_T6_T7_T8_P12ihipStream_tbENKUlT_T0_E_clISt17integral_constantIbLb1EES12_IbLb0EEEEDaSY_SZ_EUlSY_E_NS1_11comp_targetILNS1_3genE10ELNS1_11target_archE1200ELNS1_3gpuE4ELNS1_3repE0EEENS1_30default_config_static_selectorELNS0_4arch9wavefront6targetE0EEEvT1_ ; -- Begin function _ZN7rocprim17ROCPRIM_400000_NS6detail17trampoline_kernelINS0_14default_configENS1_29reduce_by_key_config_selectorIifN6thrust23THRUST_200600_302600_NS4plusIfEEEEZZNS1_33reduce_by_key_impl_wrapped_configILNS1_25lookback_scan_determinismE0ES3_S9_NS6_6detail15normal_iteratorINS6_10device_ptrIiEEEENSD_INSE_IfEEEESG_SI_PmS8_NS6_8equal_toIiEEEE10hipError_tPvRmT2_T3_mT4_T5_T6_T7_T8_P12ihipStream_tbENKUlT_T0_E_clISt17integral_constantIbLb1EES12_IbLb0EEEEDaSY_SZ_EUlSY_E_NS1_11comp_targetILNS1_3genE10ELNS1_11target_archE1200ELNS1_3gpuE4ELNS1_3repE0EEENS1_30default_config_static_selectorELNS0_4arch9wavefront6targetE0EEEvT1_
	.globl	_ZN7rocprim17ROCPRIM_400000_NS6detail17trampoline_kernelINS0_14default_configENS1_29reduce_by_key_config_selectorIifN6thrust23THRUST_200600_302600_NS4plusIfEEEEZZNS1_33reduce_by_key_impl_wrapped_configILNS1_25lookback_scan_determinismE0ES3_S9_NS6_6detail15normal_iteratorINS6_10device_ptrIiEEEENSD_INSE_IfEEEESG_SI_PmS8_NS6_8equal_toIiEEEE10hipError_tPvRmT2_T3_mT4_T5_T6_T7_T8_P12ihipStream_tbENKUlT_T0_E_clISt17integral_constantIbLb1EES12_IbLb0EEEEDaSY_SZ_EUlSY_E_NS1_11comp_targetILNS1_3genE10ELNS1_11target_archE1200ELNS1_3gpuE4ELNS1_3repE0EEENS1_30default_config_static_selectorELNS0_4arch9wavefront6targetE0EEEvT1_
	.p2align	8
	.type	_ZN7rocprim17ROCPRIM_400000_NS6detail17trampoline_kernelINS0_14default_configENS1_29reduce_by_key_config_selectorIifN6thrust23THRUST_200600_302600_NS4plusIfEEEEZZNS1_33reduce_by_key_impl_wrapped_configILNS1_25lookback_scan_determinismE0ES3_S9_NS6_6detail15normal_iteratorINS6_10device_ptrIiEEEENSD_INSE_IfEEEESG_SI_PmS8_NS6_8equal_toIiEEEE10hipError_tPvRmT2_T3_mT4_T5_T6_T7_T8_P12ihipStream_tbENKUlT_T0_E_clISt17integral_constantIbLb1EES12_IbLb0EEEEDaSY_SZ_EUlSY_E_NS1_11comp_targetILNS1_3genE10ELNS1_11target_archE1200ELNS1_3gpuE4ELNS1_3repE0EEENS1_30default_config_static_selectorELNS0_4arch9wavefront6targetE0EEEvT1_,@function
_ZN7rocprim17ROCPRIM_400000_NS6detail17trampoline_kernelINS0_14default_configENS1_29reduce_by_key_config_selectorIifN6thrust23THRUST_200600_302600_NS4plusIfEEEEZZNS1_33reduce_by_key_impl_wrapped_configILNS1_25lookback_scan_determinismE0ES3_S9_NS6_6detail15normal_iteratorINS6_10device_ptrIiEEEENSD_INSE_IfEEEESG_SI_PmS8_NS6_8equal_toIiEEEE10hipError_tPvRmT2_T3_mT4_T5_T6_T7_T8_P12ihipStream_tbENKUlT_T0_E_clISt17integral_constantIbLb1EES12_IbLb0EEEEDaSY_SZ_EUlSY_E_NS1_11comp_targetILNS1_3genE10ELNS1_11target_archE1200ELNS1_3gpuE4ELNS1_3repE0EEENS1_30default_config_static_selectorELNS0_4arch9wavefront6targetE0EEEvT1_: ; @_ZN7rocprim17ROCPRIM_400000_NS6detail17trampoline_kernelINS0_14default_configENS1_29reduce_by_key_config_selectorIifN6thrust23THRUST_200600_302600_NS4plusIfEEEEZZNS1_33reduce_by_key_impl_wrapped_configILNS1_25lookback_scan_determinismE0ES3_S9_NS6_6detail15normal_iteratorINS6_10device_ptrIiEEEENSD_INSE_IfEEEESG_SI_PmS8_NS6_8equal_toIiEEEE10hipError_tPvRmT2_T3_mT4_T5_T6_T7_T8_P12ihipStream_tbENKUlT_T0_E_clISt17integral_constantIbLb1EES12_IbLb0EEEEDaSY_SZ_EUlSY_E_NS1_11comp_targetILNS1_3genE10ELNS1_11target_archE1200ELNS1_3gpuE4ELNS1_3repE0EEENS1_30default_config_static_selectorELNS0_4arch9wavefront6targetE0EEEvT1_
; %bb.0:
	.section	.rodata,"a",@progbits
	.p2align	6, 0x0
	.amdhsa_kernel _ZN7rocprim17ROCPRIM_400000_NS6detail17trampoline_kernelINS0_14default_configENS1_29reduce_by_key_config_selectorIifN6thrust23THRUST_200600_302600_NS4plusIfEEEEZZNS1_33reduce_by_key_impl_wrapped_configILNS1_25lookback_scan_determinismE0ES3_S9_NS6_6detail15normal_iteratorINS6_10device_ptrIiEEEENSD_INSE_IfEEEESG_SI_PmS8_NS6_8equal_toIiEEEE10hipError_tPvRmT2_T3_mT4_T5_T6_T7_T8_P12ihipStream_tbENKUlT_T0_E_clISt17integral_constantIbLb1EES12_IbLb0EEEEDaSY_SZ_EUlSY_E_NS1_11comp_targetILNS1_3genE10ELNS1_11target_archE1200ELNS1_3gpuE4ELNS1_3repE0EEENS1_30default_config_static_selectorELNS0_4arch9wavefront6targetE0EEEvT1_
		.amdhsa_group_segment_fixed_size 0
		.amdhsa_private_segment_fixed_size 0
		.amdhsa_kernarg_size 120
		.amdhsa_user_sgpr_count 6
		.amdhsa_user_sgpr_private_segment_buffer 1
		.amdhsa_user_sgpr_dispatch_ptr 0
		.amdhsa_user_sgpr_queue_ptr 0
		.amdhsa_user_sgpr_kernarg_segment_ptr 1
		.amdhsa_user_sgpr_dispatch_id 0
		.amdhsa_user_sgpr_flat_scratch_init 0
		.amdhsa_user_sgpr_private_segment_size 0
		.amdhsa_wavefront_size32 1
		.amdhsa_uses_dynamic_stack 0
		.amdhsa_system_sgpr_private_segment_wavefront_offset 0
		.amdhsa_system_sgpr_workgroup_id_x 1
		.amdhsa_system_sgpr_workgroup_id_y 0
		.amdhsa_system_sgpr_workgroup_id_z 0
		.amdhsa_system_sgpr_workgroup_info 0
		.amdhsa_system_vgpr_workitem_id 0
		.amdhsa_next_free_vgpr 1
		.amdhsa_next_free_sgpr 1
		.amdhsa_reserve_vcc 0
		.amdhsa_reserve_flat_scratch 0
		.amdhsa_float_round_mode_32 0
		.amdhsa_float_round_mode_16_64 0
		.amdhsa_float_denorm_mode_32 3
		.amdhsa_float_denorm_mode_16_64 3
		.amdhsa_dx10_clamp 1
		.amdhsa_ieee_mode 1
		.amdhsa_fp16_overflow 0
		.amdhsa_workgroup_processor_mode 1
		.amdhsa_memory_ordered 1
		.amdhsa_forward_progress 1
		.amdhsa_shared_vgpr_count 0
		.amdhsa_exception_fp_ieee_invalid_op 0
		.amdhsa_exception_fp_denorm_src 0
		.amdhsa_exception_fp_ieee_div_zero 0
		.amdhsa_exception_fp_ieee_overflow 0
		.amdhsa_exception_fp_ieee_underflow 0
		.amdhsa_exception_fp_ieee_inexact 0
		.amdhsa_exception_int_div_zero 0
	.end_amdhsa_kernel
	.section	.text._ZN7rocprim17ROCPRIM_400000_NS6detail17trampoline_kernelINS0_14default_configENS1_29reduce_by_key_config_selectorIifN6thrust23THRUST_200600_302600_NS4plusIfEEEEZZNS1_33reduce_by_key_impl_wrapped_configILNS1_25lookback_scan_determinismE0ES3_S9_NS6_6detail15normal_iteratorINS6_10device_ptrIiEEEENSD_INSE_IfEEEESG_SI_PmS8_NS6_8equal_toIiEEEE10hipError_tPvRmT2_T3_mT4_T5_T6_T7_T8_P12ihipStream_tbENKUlT_T0_E_clISt17integral_constantIbLb1EES12_IbLb0EEEEDaSY_SZ_EUlSY_E_NS1_11comp_targetILNS1_3genE10ELNS1_11target_archE1200ELNS1_3gpuE4ELNS1_3repE0EEENS1_30default_config_static_selectorELNS0_4arch9wavefront6targetE0EEEvT1_,"axG",@progbits,_ZN7rocprim17ROCPRIM_400000_NS6detail17trampoline_kernelINS0_14default_configENS1_29reduce_by_key_config_selectorIifN6thrust23THRUST_200600_302600_NS4plusIfEEEEZZNS1_33reduce_by_key_impl_wrapped_configILNS1_25lookback_scan_determinismE0ES3_S9_NS6_6detail15normal_iteratorINS6_10device_ptrIiEEEENSD_INSE_IfEEEESG_SI_PmS8_NS6_8equal_toIiEEEE10hipError_tPvRmT2_T3_mT4_T5_T6_T7_T8_P12ihipStream_tbENKUlT_T0_E_clISt17integral_constantIbLb1EES12_IbLb0EEEEDaSY_SZ_EUlSY_E_NS1_11comp_targetILNS1_3genE10ELNS1_11target_archE1200ELNS1_3gpuE4ELNS1_3repE0EEENS1_30default_config_static_selectorELNS0_4arch9wavefront6targetE0EEEvT1_,comdat
.Lfunc_end92:
	.size	_ZN7rocprim17ROCPRIM_400000_NS6detail17trampoline_kernelINS0_14default_configENS1_29reduce_by_key_config_selectorIifN6thrust23THRUST_200600_302600_NS4plusIfEEEEZZNS1_33reduce_by_key_impl_wrapped_configILNS1_25lookback_scan_determinismE0ES3_S9_NS6_6detail15normal_iteratorINS6_10device_ptrIiEEEENSD_INSE_IfEEEESG_SI_PmS8_NS6_8equal_toIiEEEE10hipError_tPvRmT2_T3_mT4_T5_T6_T7_T8_P12ihipStream_tbENKUlT_T0_E_clISt17integral_constantIbLb1EES12_IbLb0EEEEDaSY_SZ_EUlSY_E_NS1_11comp_targetILNS1_3genE10ELNS1_11target_archE1200ELNS1_3gpuE4ELNS1_3repE0EEENS1_30default_config_static_selectorELNS0_4arch9wavefront6targetE0EEEvT1_, .Lfunc_end92-_ZN7rocprim17ROCPRIM_400000_NS6detail17trampoline_kernelINS0_14default_configENS1_29reduce_by_key_config_selectorIifN6thrust23THRUST_200600_302600_NS4plusIfEEEEZZNS1_33reduce_by_key_impl_wrapped_configILNS1_25lookback_scan_determinismE0ES3_S9_NS6_6detail15normal_iteratorINS6_10device_ptrIiEEEENSD_INSE_IfEEEESG_SI_PmS8_NS6_8equal_toIiEEEE10hipError_tPvRmT2_T3_mT4_T5_T6_T7_T8_P12ihipStream_tbENKUlT_T0_E_clISt17integral_constantIbLb1EES12_IbLb0EEEEDaSY_SZ_EUlSY_E_NS1_11comp_targetILNS1_3genE10ELNS1_11target_archE1200ELNS1_3gpuE4ELNS1_3repE0EEENS1_30default_config_static_selectorELNS0_4arch9wavefront6targetE0EEEvT1_
                                        ; -- End function
	.set _ZN7rocprim17ROCPRIM_400000_NS6detail17trampoline_kernelINS0_14default_configENS1_29reduce_by_key_config_selectorIifN6thrust23THRUST_200600_302600_NS4plusIfEEEEZZNS1_33reduce_by_key_impl_wrapped_configILNS1_25lookback_scan_determinismE0ES3_S9_NS6_6detail15normal_iteratorINS6_10device_ptrIiEEEENSD_INSE_IfEEEESG_SI_PmS8_NS6_8equal_toIiEEEE10hipError_tPvRmT2_T3_mT4_T5_T6_T7_T8_P12ihipStream_tbENKUlT_T0_E_clISt17integral_constantIbLb1EES12_IbLb0EEEEDaSY_SZ_EUlSY_E_NS1_11comp_targetILNS1_3genE10ELNS1_11target_archE1200ELNS1_3gpuE4ELNS1_3repE0EEENS1_30default_config_static_selectorELNS0_4arch9wavefront6targetE0EEEvT1_.num_vgpr, 0
	.set _ZN7rocprim17ROCPRIM_400000_NS6detail17trampoline_kernelINS0_14default_configENS1_29reduce_by_key_config_selectorIifN6thrust23THRUST_200600_302600_NS4plusIfEEEEZZNS1_33reduce_by_key_impl_wrapped_configILNS1_25lookback_scan_determinismE0ES3_S9_NS6_6detail15normal_iteratorINS6_10device_ptrIiEEEENSD_INSE_IfEEEESG_SI_PmS8_NS6_8equal_toIiEEEE10hipError_tPvRmT2_T3_mT4_T5_T6_T7_T8_P12ihipStream_tbENKUlT_T0_E_clISt17integral_constantIbLb1EES12_IbLb0EEEEDaSY_SZ_EUlSY_E_NS1_11comp_targetILNS1_3genE10ELNS1_11target_archE1200ELNS1_3gpuE4ELNS1_3repE0EEENS1_30default_config_static_selectorELNS0_4arch9wavefront6targetE0EEEvT1_.num_agpr, 0
	.set _ZN7rocprim17ROCPRIM_400000_NS6detail17trampoline_kernelINS0_14default_configENS1_29reduce_by_key_config_selectorIifN6thrust23THRUST_200600_302600_NS4plusIfEEEEZZNS1_33reduce_by_key_impl_wrapped_configILNS1_25lookback_scan_determinismE0ES3_S9_NS6_6detail15normal_iteratorINS6_10device_ptrIiEEEENSD_INSE_IfEEEESG_SI_PmS8_NS6_8equal_toIiEEEE10hipError_tPvRmT2_T3_mT4_T5_T6_T7_T8_P12ihipStream_tbENKUlT_T0_E_clISt17integral_constantIbLb1EES12_IbLb0EEEEDaSY_SZ_EUlSY_E_NS1_11comp_targetILNS1_3genE10ELNS1_11target_archE1200ELNS1_3gpuE4ELNS1_3repE0EEENS1_30default_config_static_selectorELNS0_4arch9wavefront6targetE0EEEvT1_.numbered_sgpr, 0
	.set _ZN7rocprim17ROCPRIM_400000_NS6detail17trampoline_kernelINS0_14default_configENS1_29reduce_by_key_config_selectorIifN6thrust23THRUST_200600_302600_NS4plusIfEEEEZZNS1_33reduce_by_key_impl_wrapped_configILNS1_25lookback_scan_determinismE0ES3_S9_NS6_6detail15normal_iteratorINS6_10device_ptrIiEEEENSD_INSE_IfEEEESG_SI_PmS8_NS6_8equal_toIiEEEE10hipError_tPvRmT2_T3_mT4_T5_T6_T7_T8_P12ihipStream_tbENKUlT_T0_E_clISt17integral_constantIbLb1EES12_IbLb0EEEEDaSY_SZ_EUlSY_E_NS1_11comp_targetILNS1_3genE10ELNS1_11target_archE1200ELNS1_3gpuE4ELNS1_3repE0EEENS1_30default_config_static_selectorELNS0_4arch9wavefront6targetE0EEEvT1_.num_named_barrier, 0
	.set _ZN7rocprim17ROCPRIM_400000_NS6detail17trampoline_kernelINS0_14default_configENS1_29reduce_by_key_config_selectorIifN6thrust23THRUST_200600_302600_NS4plusIfEEEEZZNS1_33reduce_by_key_impl_wrapped_configILNS1_25lookback_scan_determinismE0ES3_S9_NS6_6detail15normal_iteratorINS6_10device_ptrIiEEEENSD_INSE_IfEEEESG_SI_PmS8_NS6_8equal_toIiEEEE10hipError_tPvRmT2_T3_mT4_T5_T6_T7_T8_P12ihipStream_tbENKUlT_T0_E_clISt17integral_constantIbLb1EES12_IbLb0EEEEDaSY_SZ_EUlSY_E_NS1_11comp_targetILNS1_3genE10ELNS1_11target_archE1200ELNS1_3gpuE4ELNS1_3repE0EEENS1_30default_config_static_selectorELNS0_4arch9wavefront6targetE0EEEvT1_.private_seg_size, 0
	.set _ZN7rocprim17ROCPRIM_400000_NS6detail17trampoline_kernelINS0_14default_configENS1_29reduce_by_key_config_selectorIifN6thrust23THRUST_200600_302600_NS4plusIfEEEEZZNS1_33reduce_by_key_impl_wrapped_configILNS1_25lookback_scan_determinismE0ES3_S9_NS6_6detail15normal_iteratorINS6_10device_ptrIiEEEENSD_INSE_IfEEEESG_SI_PmS8_NS6_8equal_toIiEEEE10hipError_tPvRmT2_T3_mT4_T5_T6_T7_T8_P12ihipStream_tbENKUlT_T0_E_clISt17integral_constantIbLb1EES12_IbLb0EEEEDaSY_SZ_EUlSY_E_NS1_11comp_targetILNS1_3genE10ELNS1_11target_archE1200ELNS1_3gpuE4ELNS1_3repE0EEENS1_30default_config_static_selectorELNS0_4arch9wavefront6targetE0EEEvT1_.uses_vcc, 0
	.set _ZN7rocprim17ROCPRIM_400000_NS6detail17trampoline_kernelINS0_14default_configENS1_29reduce_by_key_config_selectorIifN6thrust23THRUST_200600_302600_NS4plusIfEEEEZZNS1_33reduce_by_key_impl_wrapped_configILNS1_25lookback_scan_determinismE0ES3_S9_NS6_6detail15normal_iteratorINS6_10device_ptrIiEEEENSD_INSE_IfEEEESG_SI_PmS8_NS6_8equal_toIiEEEE10hipError_tPvRmT2_T3_mT4_T5_T6_T7_T8_P12ihipStream_tbENKUlT_T0_E_clISt17integral_constantIbLb1EES12_IbLb0EEEEDaSY_SZ_EUlSY_E_NS1_11comp_targetILNS1_3genE10ELNS1_11target_archE1200ELNS1_3gpuE4ELNS1_3repE0EEENS1_30default_config_static_selectorELNS0_4arch9wavefront6targetE0EEEvT1_.uses_flat_scratch, 0
	.set _ZN7rocprim17ROCPRIM_400000_NS6detail17trampoline_kernelINS0_14default_configENS1_29reduce_by_key_config_selectorIifN6thrust23THRUST_200600_302600_NS4plusIfEEEEZZNS1_33reduce_by_key_impl_wrapped_configILNS1_25lookback_scan_determinismE0ES3_S9_NS6_6detail15normal_iteratorINS6_10device_ptrIiEEEENSD_INSE_IfEEEESG_SI_PmS8_NS6_8equal_toIiEEEE10hipError_tPvRmT2_T3_mT4_T5_T6_T7_T8_P12ihipStream_tbENKUlT_T0_E_clISt17integral_constantIbLb1EES12_IbLb0EEEEDaSY_SZ_EUlSY_E_NS1_11comp_targetILNS1_3genE10ELNS1_11target_archE1200ELNS1_3gpuE4ELNS1_3repE0EEENS1_30default_config_static_selectorELNS0_4arch9wavefront6targetE0EEEvT1_.has_dyn_sized_stack, 0
	.set _ZN7rocprim17ROCPRIM_400000_NS6detail17trampoline_kernelINS0_14default_configENS1_29reduce_by_key_config_selectorIifN6thrust23THRUST_200600_302600_NS4plusIfEEEEZZNS1_33reduce_by_key_impl_wrapped_configILNS1_25lookback_scan_determinismE0ES3_S9_NS6_6detail15normal_iteratorINS6_10device_ptrIiEEEENSD_INSE_IfEEEESG_SI_PmS8_NS6_8equal_toIiEEEE10hipError_tPvRmT2_T3_mT4_T5_T6_T7_T8_P12ihipStream_tbENKUlT_T0_E_clISt17integral_constantIbLb1EES12_IbLb0EEEEDaSY_SZ_EUlSY_E_NS1_11comp_targetILNS1_3genE10ELNS1_11target_archE1200ELNS1_3gpuE4ELNS1_3repE0EEENS1_30default_config_static_selectorELNS0_4arch9wavefront6targetE0EEEvT1_.has_recursion, 0
	.set _ZN7rocprim17ROCPRIM_400000_NS6detail17trampoline_kernelINS0_14default_configENS1_29reduce_by_key_config_selectorIifN6thrust23THRUST_200600_302600_NS4plusIfEEEEZZNS1_33reduce_by_key_impl_wrapped_configILNS1_25lookback_scan_determinismE0ES3_S9_NS6_6detail15normal_iteratorINS6_10device_ptrIiEEEENSD_INSE_IfEEEESG_SI_PmS8_NS6_8equal_toIiEEEE10hipError_tPvRmT2_T3_mT4_T5_T6_T7_T8_P12ihipStream_tbENKUlT_T0_E_clISt17integral_constantIbLb1EES12_IbLb0EEEEDaSY_SZ_EUlSY_E_NS1_11comp_targetILNS1_3genE10ELNS1_11target_archE1200ELNS1_3gpuE4ELNS1_3repE0EEENS1_30default_config_static_selectorELNS0_4arch9wavefront6targetE0EEEvT1_.has_indirect_call, 0
	.section	.AMDGPU.csdata,"",@progbits
; Kernel info:
; codeLenInByte = 0
; TotalNumSgprs: 0
; NumVgprs: 0
; ScratchSize: 0
; MemoryBound: 0
; FloatMode: 240
; IeeeMode: 1
; LDSByteSize: 0 bytes/workgroup (compile time only)
; SGPRBlocks: 0
; VGPRBlocks: 0
; NumSGPRsForWavesPerEU: 1
; NumVGPRsForWavesPerEU: 1
; Occupancy: 16
; WaveLimiterHint : 0
; COMPUTE_PGM_RSRC2:SCRATCH_EN: 0
; COMPUTE_PGM_RSRC2:USER_SGPR: 6
; COMPUTE_PGM_RSRC2:TRAP_HANDLER: 0
; COMPUTE_PGM_RSRC2:TGID_X_EN: 1
; COMPUTE_PGM_RSRC2:TGID_Y_EN: 0
; COMPUTE_PGM_RSRC2:TGID_Z_EN: 0
; COMPUTE_PGM_RSRC2:TIDIG_COMP_CNT: 0
	.section	.text._ZN7rocprim17ROCPRIM_400000_NS6detail17trampoline_kernelINS0_14default_configENS1_29reduce_by_key_config_selectorIifN6thrust23THRUST_200600_302600_NS4plusIfEEEEZZNS1_33reduce_by_key_impl_wrapped_configILNS1_25lookback_scan_determinismE0ES3_S9_NS6_6detail15normal_iteratorINS6_10device_ptrIiEEEENSD_INSE_IfEEEESG_SI_PmS8_NS6_8equal_toIiEEEE10hipError_tPvRmT2_T3_mT4_T5_T6_T7_T8_P12ihipStream_tbENKUlT_T0_E_clISt17integral_constantIbLb1EES12_IbLb0EEEEDaSY_SZ_EUlSY_E_NS1_11comp_targetILNS1_3genE9ELNS1_11target_archE1100ELNS1_3gpuE3ELNS1_3repE0EEENS1_30default_config_static_selectorELNS0_4arch9wavefront6targetE0EEEvT1_,"axG",@progbits,_ZN7rocprim17ROCPRIM_400000_NS6detail17trampoline_kernelINS0_14default_configENS1_29reduce_by_key_config_selectorIifN6thrust23THRUST_200600_302600_NS4plusIfEEEEZZNS1_33reduce_by_key_impl_wrapped_configILNS1_25lookback_scan_determinismE0ES3_S9_NS6_6detail15normal_iteratorINS6_10device_ptrIiEEEENSD_INSE_IfEEEESG_SI_PmS8_NS6_8equal_toIiEEEE10hipError_tPvRmT2_T3_mT4_T5_T6_T7_T8_P12ihipStream_tbENKUlT_T0_E_clISt17integral_constantIbLb1EES12_IbLb0EEEEDaSY_SZ_EUlSY_E_NS1_11comp_targetILNS1_3genE9ELNS1_11target_archE1100ELNS1_3gpuE3ELNS1_3repE0EEENS1_30default_config_static_selectorELNS0_4arch9wavefront6targetE0EEEvT1_,comdat
	.protected	_ZN7rocprim17ROCPRIM_400000_NS6detail17trampoline_kernelINS0_14default_configENS1_29reduce_by_key_config_selectorIifN6thrust23THRUST_200600_302600_NS4plusIfEEEEZZNS1_33reduce_by_key_impl_wrapped_configILNS1_25lookback_scan_determinismE0ES3_S9_NS6_6detail15normal_iteratorINS6_10device_ptrIiEEEENSD_INSE_IfEEEESG_SI_PmS8_NS6_8equal_toIiEEEE10hipError_tPvRmT2_T3_mT4_T5_T6_T7_T8_P12ihipStream_tbENKUlT_T0_E_clISt17integral_constantIbLb1EES12_IbLb0EEEEDaSY_SZ_EUlSY_E_NS1_11comp_targetILNS1_3genE9ELNS1_11target_archE1100ELNS1_3gpuE3ELNS1_3repE0EEENS1_30default_config_static_selectorELNS0_4arch9wavefront6targetE0EEEvT1_ ; -- Begin function _ZN7rocprim17ROCPRIM_400000_NS6detail17trampoline_kernelINS0_14default_configENS1_29reduce_by_key_config_selectorIifN6thrust23THRUST_200600_302600_NS4plusIfEEEEZZNS1_33reduce_by_key_impl_wrapped_configILNS1_25lookback_scan_determinismE0ES3_S9_NS6_6detail15normal_iteratorINS6_10device_ptrIiEEEENSD_INSE_IfEEEESG_SI_PmS8_NS6_8equal_toIiEEEE10hipError_tPvRmT2_T3_mT4_T5_T6_T7_T8_P12ihipStream_tbENKUlT_T0_E_clISt17integral_constantIbLb1EES12_IbLb0EEEEDaSY_SZ_EUlSY_E_NS1_11comp_targetILNS1_3genE9ELNS1_11target_archE1100ELNS1_3gpuE3ELNS1_3repE0EEENS1_30default_config_static_selectorELNS0_4arch9wavefront6targetE0EEEvT1_
	.globl	_ZN7rocprim17ROCPRIM_400000_NS6detail17trampoline_kernelINS0_14default_configENS1_29reduce_by_key_config_selectorIifN6thrust23THRUST_200600_302600_NS4plusIfEEEEZZNS1_33reduce_by_key_impl_wrapped_configILNS1_25lookback_scan_determinismE0ES3_S9_NS6_6detail15normal_iteratorINS6_10device_ptrIiEEEENSD_INSE_IfEEEESG_SI_PmS8_NS6_8equal_toIiEEEE10hipError_tPvRmT2_T3_mT4_T5_T6_T7_T8_P12ihipStream_tbENKUlT_T0_E_clISt17integral_constantIbLb1EES12_IbLb0EEEEDaSY_SZ_EUlSY_E_NS1_11comp_targetILNS1_3genE9ELNS1_11target_archE1100ELNS1_3gpuE3ELNS1_3repE0EEENS1_30default_config_static_selectorELNS0_4arch9wavefront6targetE0EEEvT1_
	.p2align	8
	.type	_ZN7rocprim17ROCPRIM_400000_NS6detail17trampoline_kernelINS0_14default_configENS1_29reduce_by_key_config_selectorIifN6thrust23THRUST_200600_302600_NS4plusIfEEEEZZNS1_33reduce_by_key_impl_wrapped_configILNS1_25lookback_scan_determinismE0ES3_S9_NS6_6detail15normal_iteratorINS6_10device_ptrIiEEEENSD_INSE_IfEEEESG_SI_PmS8_NS6_8equal_toIiEEEE10hipError_tPvRmT2_T3_mT4_T5_T6_T7_T8_P12ihipStream_tbENKUlT_T0_E_clISt17integral_constantIbLb1EES12_IbLb0EEEEDaSY_SZ_EUlSY_E_NS1_11comp_targetILNS1_3genE9ELNS1_11target_archE1100ELNS1_3gpuE3ELNS1_3repE0EEENS1_30default_config_static_selectorELNS0_4arch9wavefront6targetE0EEEvT1_,@function
_ZN7rocprim17ROCPRIM_400000_NS6detail17trampoline_kernelINS0_14default_configENS1_29reduce_by_key_config_selectorIifN6thrust23THRUST_200600_302600_NS4plusIfEEEEZZNS1_33reduce_by_key_impl_wrapped_configILNS1_25lookback_scan_determinismE0ES3_S9_NS6_6detail15normal_iteratorINS6_10device_ptrIiEEEENSD_INSE_IfEEEESG_SI_PmS8_NS6_8equal_toIiEEEE10hipError_tPvRmT2_T3_mT4_T5_T6_T7_T8_P12ihipStream_tbENKUlT_T0_E_clISt17integral_constantIbLb1EES12_IbLb0EEEEDaSY_SZ_EUlSY_E_NS1_11comp_targetILNS1_3genE9ELNS1_11target_archE1100ELNS1_3gpuE3ELNS1_3repE0EEENS1_30default_config_static_selectorELNS0_4arch9wavefront6targetE0EEEvT1_: ; @_ZN7rocprim17ROCPRIM_400000_NS6detail17trampoline_kernelINS0_14default_configENS1_29reduce_by_key_config_selectorIifN6thrust23THRUST_200600_302600_NS4plusIfEEEEZZNS1_33reduce_by_key_impl_wrapped_configILNS1_25lookback_scan_determinismE0ES3_S9_NS6_6detail15normal_iteratorINS6_10device_ptrIiEEEENSD_INSE_IfEEEESG_SI_PmS8_NS6_8equal_toIiEEEE10hipError_tPvRmT2_T3_mT4_T5_T6_T7_T8_P12ihipStream_tbENKUlT_T0_E_clISt17integral_constantIbLb1EES12_IbLb0EEEEDaSY_SZ_EUlSY_E_NS1_11comp_targetILNS1_3genE9ELNS1_11target_archE1100ELNS1_3gpuE3ELNS1_3repE0EEENS1_30default_config_static_selectorELNS0_4arch9wavefront6targetE0EEEvT1_
; %bb.0:
	.section	.rodata,"a",@progbits
	.p2align	6, 0x0
	.amdhsa_kernel _ZN7rocprim17ROCPRIM_400000_NS6detail17trampoline_kernelINS0_14default_configENS1_29reduce_by_key_config_selectorIifN6thrust23THRUST_200600_302600_NS4plusIfEEEEZZNS1_33reduce_by_key_impl_wrapped_configILNS1_25lookback_scan_determinismE0ES3_S9_NS6_6detail15normal_iteratorINS6_10device_ptrIiEEEENSD_INSE_IfEEEESG_SI_PmS8_NS6_8equal_toIiEEEE10hipError_tPvRmT2_T3_mT4_T5_T6_T7_T8_P12ihipStream_tbENKUlT_T0_E_clISt17integral_constantIbLb1EES12_IbLb0EEEEDaSY_SZ_EUlSY_E_NS1_11comp_targetILNS1_3genE9ELNS1_11target_archE1100ELNS1_3gpuE3ELNS1_3repE0EEENS1_30default_config_static_selectorELNS0_4arch9wavefront6targetE0EEEvT1_
		.amdhsa_group_segment_fixed_size 0
		.amdhsa_private_segment_fixed_size 0
		.amdhsa_kernarg_size 120
		.amdhsa_user_sgpr_count 6
		.amdhsa_user_sgpr_private_segment_buffer 1
		.amdhsa_user_sgpr_dispatch_ptr 0
		.amdhsa_user_sgpr_queue_ptr 0
		.amdhsa_user_sgpr_kernarg_segment_ptr 1
		.amdhsa_user_sgpr_dispatch_id 0
		.amdhsa_user_sgpr_flat_scratch_init 0
		.amdhsa_user_sgpr_private_segment_size 0
		.amdhsa_wavefront_size32 1
		.amdhsa_uses_dynamic_stack 0
		.amdhsa_system_sgpr_private_segment_wavefront_offset 0
		.amdhsa_system_sgpr_workgroup_id_x 1
		.amdhsa_system_sgpr_workgroup_id_y 0
		.amdhsa_system_sgpr_workgroup_id_z 0
		.amdhsa_system_sgpr_workgroup_info 0
		.amdhsa_system_vgpr_workitem_id 0
		.amdhsa_next_free_vgpr 1
		.amdhsa_next_free_sgpr 1
		.amdhsa_reserve_vcc 0
		.amdhsa_reserve_flat_scratch 0
		.amdhsa_float_round_mode_32 0
		.amdhsa_float_round_mode_16_64 0
		.amdhsa_float_denorm_mode_32 3
		.amdhsa_float_denorm_mode_16_64 3
		.amdhsa_dx10_clamp 1
		.amdhsa_ieee_mode 1
		.amdhsa_fp16_overflow 0
		.amdhsa_workgroup_processor_mode 1
		.amdhsa_memory_ordered 1
		.amdhsa_forward_progress 1
		.amdhsa_shared_vgpr_count 0
		.amdhsa_exception_fp_ieee_invalid_op 0
		.amdhsa_exception_fp_denorm_src 0
		.amdhsa_exception_fp_ieee_div_zero 0
		.amdhsa_exception_fp_ieee_overflow 0
		.amdhsa_exception_fp_ieee_underflow 0
		.amdhsa_exception_fp_ieee_inexact 0
		.amdhsa_exception_int_div_zero 0
	.end_amdhsa_kernel
	.section	.text._ZN7rocprim17ROCPRIM_400000_NS6detail17trampoline_kernelINS0_14default_configENS1_29reduce_by_key_config_selectorIifN6thrust23THRUST_200600_302600_NS4plusIfEEEEZZNS1_33reduce_by_key_impl_wrapped_configILNS1_25lookback_scan_determinismE0ES3_S9_NS6_6detail15normal_iteratorINS6_10device_ptrIiEEEENSD_INSE_IfEEEESG_SI_PmS8_NS6_8equal_toIiEEEE10hipError_tPvRmT2_T3_mT4_T5_T6_T7_T8_P12ihipStream_tbENKUlT_T0_E_clISt17integral_constantIbLb1EES12_IbLb0EEEEDaSY_SZ_EUlSY_E_NS1_11comp_targetILNS1_3genE9ELNS1_11target_archE1100ELNS1_3gpuE3ELNS1_3repE0EEENS1_30default_config_static_selectorELNS0_4arch9wavefront6targetE0EEEvT1_,"axG",@progbits,_ZN7rocprim17ROCPRIM_400000_NS6detail17trampoline_kernelINS0_14default_configENS1_29reduce_by_key_config_selectorIifN6thrust23THRUST_200600_302600_NS4plusIfEEEEZZNS1_33reduce_by_key_impl_wrapped_configILNS1_25lookback_scan_determinismE0ES3_S9_NS6_6detail15normal_iteratorINS6_10device_ptrIiEEEENSD_INSE_IfEEEESG_SI_PmS8_NS6_8equal_toIiEEEE10hipError_tPvRmT2_T3_mT4_T5_T6_T7_T8_P12ihipStream_tbENKUlT_T0_E_clISt17integral_constantIbLb1EES12_IbLb0EEEEDaSY_SZ_EUlSY_E_NS1_11comp_targetILNS1_3genE9ELNS1_11target_archE1100ELNS1_3gpuE3ELNS1_3repE0EEENS1_30default_config_static_selectorELNS0_4arch9wavefront6targetE0EEEvT1_,comdat
.Lfunc_end93:
	.size	_ZN7rocprim17ROCPRIM_400000_NS6detail17trampoline_kernelINS0_14default_configENS1_29reduce_by_key_config_selectorIifN6thrust23THRUST_200600_302600_NS4plusIfEEEEZZNS1_33reduce_by_key_impl_wrapped_configILNS1_25lookback_scan_determinismE0ES3_S9_NS6_6detail15normal_iteratorINS6_10device_ptrIiEEEENSD_INSE_IfEEEESG_SI_PmS8_NS6_8equal_toIiEEEE10hipError_tPvRmT2_T3_mT4_T5_T6_T7_T8_P12ihipStream_tbENKUlT_T0_E_clISt17integral_constantIbLb1EES12_IbLb0EEEEDaSY_SZ_EUlSY_E_NS1_11comp_targetILNS1_3genE9ELNS1_11target_archE1100ELNS1_3gpuE3ELNS1_3repE0EEENS1_30default_config_static_selectorELNS0_4arch9wavefront6targetE0EEEvT1_, .Lfunc_end93-_ZN7rocprim17ROCPRIM_400000_NS6detail17trampoline_kernelINS0_14default_configENS1_29reduce_by_key_config_selectorIifN6thrust23THRUST_200600_302600_NS4plusIfEEEEZZNS1_33reduce_by_key_impl_wrapped_configILNS1_25lookback_scan_determinismE0ES3_S9_NS6_6detail15normal_iteratorINS6_10device_ptrIiEEEENSD_INSE_IfEEEESG_SI_PmS8_NS6_8equal_toIiEEEE10hipError_tPvRmT2_T3_mT4_T5_T6_T7_T8_P12ihipStream_tbENKUlT_T0_E_clISt17integral_constantIbLb1EES12_IbLb0EEEEDaSY_SZ_EUlSY_E_NS1_11comp_targetILNS1_3genE9ELNS1_11target_archE1100ELNS1_3gpuE3ELNS1_3repE0EEENS1_30default_config_static_selectorELNS0_4arch9wavefront6targetE0EEEvT1_
                                        ; -- End function
	.set _ZN7rocprim17ROCPRIM_400000_NS6detail17trampoline_kernelINS0_14default_configENS1_29reduce_by_key_config_selectorIifN6thrust23THRUST_200600_302600_NS4plusIfEEEEZZNS1_33reduce_by_key_impl_wrapped_configILNS1_25lookback_scan_determinismE0ES3_S9_NS6_6detail15normal_iteratorINS6_10device_ptrIiEEEENSD_INSE_IfEEEESG_SI_PmS8_NS6_8equal_toIiEEEE10hipError_tPvRmT2_T3_mT4_T5_T6_T7_T8_P12ihipStream_tbENKUlT_T0_E_clISt17integral_constantIbLb1EES12_IbLb0EEEEDaSY_SZ_EUlSY_E_NS1_11comp_targetILNS1_3genE9ELNS1_11target_archE1100ELNS1_3gpuE3ELNS1_3repE0EEENS1_30default_config_static_selectorELNS0_4arch9wavefront6targetE0EEEvT1_.num_vgpr, 0
	.set _ZN7rocprim17ROCPRIM_400000_NS6detail17trampoline_kernelINS0_14default_configENS1_29reduce_by_key_config_selectorIifN6thrust23THRUST_200600_302600_NS4plusIfEEEEZZNS1_33reduce_by_key_impl_wrapped_configILNS1_25lookback_scan_determinismE0ES3_S9_NS6_6detail15normal_iteratorINS6_10device_ptrIiEEEENSD_INSE_IfEEEESG_SI_PmS8_NS6_8equal_toIiEEEE10hipError_tPvRmT2_T3_mT4_T5_T6_T7_T8_P12ihipStream_tbENKUlT_T0_E_clISt17integral_constantIbLb1EES12_IbLb0EEEEDaSY_SZ_EUlSY_E_NS1_11comp_targetILNS1_3genE9ELNS1_11target_archE1100ELNS1_3gpuE3ELNS1_3repE0EEENS1_30default_config_static_selectorELNS0_4arch9wavefront6targetE0EEEvT1_.num_agpr, 0
	.set _ZN7rocprim17ROCPRIM_400000_NS6detail17trampoline_kernelINS0_14default_configENS1_29reduce_by_key_config_selectorIifN6thrust23THRUST_200600_302600_NS4plusIfEEEEZZNS1_33reduce_by_key_impl_wrapped_configILNS1_25lookback_scan_determinismE0ES3_S9_NS6_6detail15normal_iteratorINS6_10device_ptrIiEEEENSD_INSE_IfEEEESG_SI_PmS8_NS6_8equal_toIiEEEE10hipError_tPvRmT2_T3_mT4_T5_T6_T7_T8_P12ihipStream_tbENKUlT_T0_E_clISt17integral_constantIbLb1EES12_IbLb0EEEEDaSY_SZ_EUlSY_E_NS1_11comp_targetILNS1_3genE9ELNS1_11target_archE1100ELNS1_3gpuE3ELNS1_3repE0EEENS1_30default_config_static_selectorELNS0_4arch9wavefront6targetE0EEEvT1_.numbered_sgpr, 0
	.set _ZN7rocprim17ROCPRIM_400000_NS6detail17trampoline_kernelINS0_14default_configENS1_29reduce_by_key_config_selectorIifN6thrust23THRUST_200600_302600_NS4plusIfEEEEZZNS1_33reduce_by_key_impl_wrapped_configILNS1_25lookback_scan_determinismE0ES3_S9_NS6_6detail15normal_iteratorINS6_10device_ptrIiEEEENSD_INSE_IfEEEESG_SI_PmS8_NS6_8equal_toIiEEEE10hipError_tPvRmT2_T3_mT4_T5_T6_T7_T8_P12ihipStream_tbENKUlT_T0_E_clISt17integral_constantIbLb1EES12_IbLb0EEEEDaSY_SZ_EUlSY_E_NS1_11comp_targetILNS1_3genE9ELNS1_11target_archE1100ELNS1_3gpuE3ELNS1_3repE0EEENS1_30default_config_static_selectorELNS0_4arch9wavefront6targetE0EEEvT1_.num_named_barrier, 0
	.set _ZN7rocprim17ROCPRIM_400000_NS6detail17trampoline_kernelINS0_14default_configENS1_29reduce_by_key_config_selectorIifN6thrust23THRUST_200600_302600_NS4plusIfEEEEZZNS1_33reduce_by_key_impl_wrapped_configILNS1_25lookback_scan_determinismE0ES3_S9_NS6_6detail15normal_iteratorINS6_10device_ptrIiEEEENSD_INSE_IfEEEESG_SI_PmS8_NS6_8equal_toIiEEEE10hipError_tPvRmT2_T3_mT4_T5_T6_T7_T8_P12ihipStream_tbENKUlT_T0_E_clISt17integral_constantIbLb1EES12_IbLb0EEEEDaSY_SZ_EUlSY_E_NS1_11comp_targetILNS1_3genE9ELNS1_11target_archE1100ELNS1_3gpuE3ELNS1_3repE0EEENS1_30default_config_static_selectorELNS0_4arch9wavefront6targetE0EEEvT1_.private_seg_size, 0
	.set _ZN7rocprim17ROCPRIM_400000_NS6detail17trampoline_kernelINS0_14default_configENS1_29reduce_by_key_config_selectorIifN6thrust23THRUST_200600_302600_NS4plusIfEEEEZZNS1_33reduce_by_key_impl_wrapped_configILNS1_25lookback_scan_determinismE0ES3_S9_NS6_6detail15normal_iteratorINS6_10device_ptrIiEEEENSD_INSE_IfEEEESG_SI_PmS8_NS6_8equal_toIiEEEE10hipError_tPvRmT2_T3_mT4_T5_T6_T7_T8_P12ihipStream_tbENKUlT_T0_E_clISt17integral_constantIbLb1EES12_IbLb0EEEEDaSY_SZ_EUlSY_E_NS1_11comp_targetILNS1_3genE9ELNS1_11target_archE1100ELNS1_3gpuE3ELNS1_3repE0EEENS1_30default_config_static_selectorELNS0_4arch9wavefront6targetE0EEEvT1_.uses_vcc, 0
	.set _ZN7rocprim17ROCPRIM_400000_NS6detail17trampoline_kernelINS0_14default_configENS1_29reduce_by_key_config_selectorIifN6thrust23THRUST_200600_302600_NS4plusIfEEEEZZNS1_33reduce_by_key_impl_wrapped_configILNS1_25lookback_scan_determinismE0ES3_S9_NS6_6detail15normal_iteratorINS6_10device_ptrIiEEEENSD_INSE_IfEEEESG_SI_PmS8_NS6_8equal_toIiEEEE10hipError_tPvRmT2_T3_mT4_T5_T6_T7_T8_P12ihipStream_tbENKUlT_T0_E_clISt17integral_constantIbLb1EES12_IbLb0EEEEDaSY_SZ_EUlSY_E_NS1_11comp_targetILNS1_3genE9ELNS1_11target_archE1100ELNS1_3gpuE3ELNS1_3repE0EEENS1_30default_config_static_selectorELNS0_4arch9wavefront6targetE0EEEvT1_.uses_flat_scratch, 0
	.set _ZN7rocprim17ROCPRIM_400000_NS6detail17trampoline_kernelINS0_14default_configENS1_29reduce_by_key_config_selectorIifN6thrust23THRUST_200600_302600_NS4plusIfEEEEZZNS1_33reduce_by_key_impl_wrapped_configILNS1_25lookback_scan_determinismE0ES3_S9_NS6_6detail15normal_iteratorINS6_10device_ptrIiEEEENSD_INSE_IfEEEESG_SI_PmS8_NS6_8equal_toIiEEEE10hipError_tPvRmT2_T3_mT4_T5_T6_T7_T8_P12ihipStream_tbENKUlT_T0_E_clISt17integral_constantIbLb1EES12_IbLb0EEEEDaSY_SZ_EUlSY_E_NS1_11comp_targetILNS1_3genE9ELNS1_11target_archE1100ELNS1_3gpuE3ELNS1_3repE0EEENS1_30default_config_static_selectorELNS0_4arch9wavefront6targetE0EEEvT1_.has_dyn_sized_stack, 0
	.set _ZN7rocprim17ROCPRIM_400000_NS6detail17trampoline_kernelINS0_14default_configENS1_29reduce_by_key_config_selectorIifN6thrust23THRUST_200600_302600_NS4plusIfEEEEZZNS1_33reduce_by_key_impl_wrapped_configILNS1_25lookback_scan_determinismE0ES3_S9_NS6_6detail15normal_iteratorINS6_10device_ptrIiEEEENSD_INSE_IfEEEESG_SI_PmS8_NS6_8equal_toIiEEEE10hipError_tPvRmT2_T3_mT4_T5_T6_T7_T8_P12ihipStream_tbENKUlT_T0_E_clISt17integral_constantIbLb1EES12_IbLb0EEEEDaSY_SZ_EUlSY_E_NS1_11comp_targetILNS1_3genE9ELNS1_11target_archE1100ELNS1_3gpuE3ELNS1_3repE0EEENS1_30default_config_static_selectorELNS0_4arch9wavefront6targetE0EEEvT1_.has_recursion, 0
	.set _ZN7rocprim17ROCPRIM_400000_NS6detail17trampoline_kernelINS0_14default_configENS1_29reduce_by_key_config_selectorIifN6thrust23THRUST_200600_302600_NS4plusIfEEEEZZNS1_33reduce_by_key_impl_wrapped_configILNS1_25lookback_scan_determinismE0ES3_S9_NS6_6detail15normal_iteratorINS6_10device_ptrIiEEEENSD_INSE_IfEEEESG_SI_PmS8_NS6_8equal_toIiEEEE10hipError_tPvRmT2_T3_mT4_T5_T6_T7_T8_P12ihipStream_tbENKUlT_T0_E_clISt17integral_constantIbLb1EES12_IbLb0EEEEDaSY_SZ_EUlSY_E_NS1_11comp_targetILNS1_3genE9ELNS1_11target_archE1100ELNS1_3gpuE3ELNS1_3repE0EEENS1_30default_config_static_selectorELNS0_4arch9wavefront6targetE0EEEvT1_.has_indirect_call, 0
	.section	.AMDGPU.csdata,"",@progbits
; Kernel info:
; codeLenInByte = 0
; TotalNumSgprs: 0
; NumVgprs: 0
; ScratchSize: 0
; MemoryBound: 0
; FloatMode: 240
; IeeeMode: 1
; LDSByteSize: 0 bytes/workgroup (compile time only)
; SGPRBlocks: 0
; VGPRBlocks: 0
; NumSGPRsForWavesPerEU: 1
; NumVGPRsForWavesPerEU: 1
; Occupancy: 16
; WaveLimiterHint : 0
; COMPUTE_PGM_RSRC2:SCRATCH_EN: 0
; COMPUTE_PGM_RSRC2:USER_SGPR: 6
; COMPUTE_PGM_RSRC2:TRAP_HANDLER: 0
; COMPUTE_PGM_RSRC2:TGID_X_EN: 1
; COMPUTE_PGM_RSRC2:TGID_Y_EN: 0
; COMPUTE_PGM_RSRC2:TGID_Z_EN: 0
; COMPUTE_PGM_RSRC2:TIDIG_COMP_CNT: 0
	.section	.text._ZN7rocprim17ROCPRIM_400000_NS6detail17trampoline_kernelINS0_14default_configENS1_29reduce_by_key_config_selectorIifN6thrust23THRUST_200600_302600_NS4plusIfEEEEZZNS1_33reduce_by_key_impl_wrapped_configILNS1_25lookback_scan_determinismE0ES3_S9_NS6_6detail15normal_iteratorINS6_10device_ptrIiEEEENSD_INSE_IfEEEESG_SI_PmS8_NS6_8equal_toIiEEEE10hipError_tPvRmT2_T3_mT4_T5_T6_T7_T8_P12ihipStream_tbENKUlT_T0_E_clISt17integral_constantIbLb1EES12_IbLb0EEEEDaSY_SZ_EUlSY_E_NS1_11comp_targetILNS1_3genE8ELNS1_11target_archE1030ELNS1_3gpuE2ELNS1_3repE0EEENS1_30default_config_static_selectorELNS0_4arch9wavefront6targetE0EEEvT1_,"axG",@progbits,_ZN7rocprim17ROCPRIM_400000_NS6detail17trampoline_kernelINS0_14default_configENS1_29reduce_by_key_config_selectorIifN6thrust23THRUST_200600_302600_NS4plusIfEEEEZZNS1_33reduce_by_key_impl_wrapped_configILNS1_25lookback_scan_determinismE0ES3_S9_NS6_6detail15normal_iteratorINS6_10device_ptrIiEEEENSD_INSE_IfEEEESG_SI_PmS8_NS6_8equal_toIiEEEE10hipError_tPvRmT2_T3_mT4_T5_T6_T7_T8_P12ihipStream_tbENKUlT_T0_E_clISt17integral_constantIbLb1EES12_IbLb0EEEEDaSY_SZ_EUlSY_E_NS1_11comp_targetILNS1_3genE8ELNS1_11target_archE1030ELNS1_3gpuE2ELNS1_3repE0EEENS1_30default_config_static_selectorELNS0_4arch9wavefront6targetE0EEEvT1_,comdat
	.protected	_ZN7rocprim17ROCPRIM_400000_NS6detail17trampoline_kernelINS0_14default_configENS1_29reduce_by_key_config_selectorIifN6thrust23THRUST_200600_302600_NS4plusIfEEEEZZNS1_33reduce_by_key_impl_wrapped_configILNS1_25lookback_scan_determinismE0ES3_S9_NS6_6detail15normal_iteratorINS6_10device_ptrIiEEEENSD_INSE_IfEEEESG_SI_PmS8_NS6_8equal_toIiEEEE10hipError_tPvRmT2_T3_mT4_T5_T6_T7_T8_P12ihipStream_tbENKUlT_T0_E_clISt17integral_constantIbLb1EES12_IbLb0EEEEDaSY_SZ_EUlSY_E_NS1_11comp_targetILNS1_3genE8ELNS1_11target_archE1030ELNS1_3gpuE2ELNS1_3repE0EEENS1_30default_config_static_selectorELNS0_4arch9wavefront6targetE0EEEvT1_ ; -- Begin function _ZN7rocprim17ROCPRIM_400000_NS6detail17trampoline_kernelINS0_14default_configENS1_29reduce_by_key_config_selectorIifN6thrust23THRUST_200600_302600_NS4plusIfEEEEZZNS1_33reduce_by_key_impl_wrapped_configILNS1_25lookback_scan_determinismE0ES3_S9_NS6_6detail15normal_iteratorINS6_10device_ptrIiEEEENSD_INSE_IfEEEESG_SI_PmS8_NS6_8equal_toIiEEEE10hipError_tPvRmT2_T3_mT4_T5_T6_T7_T8_P12ihipStream_tbENKUlT_T0_E_clISt17integral_constantIbLb1EES12_IbLb0EEEEDaSY_SZ_EUlSY_E_NS1_11comp_targetILNS1_3genE8ELNS1_11target_archE1030ELNS1_3gpuE2ELNS1_3repE0EEENS1_30default_config_static_selectorELNS0_4arch9wavefront6targetE0EEEvT1_
	.globl	_ZN7rocprim17ROCPRIM_400000_NS6detail17trampoline_kernelINS0_14default_configENS1_29reduce_by_key_config_selectorIifN6thrust23THRUST_200600_302600_NS4plusIfEEEEZZNS1_33reduce_by_key_impl_wrapped_configILNS1_25lookback_scan_determinismE0ES3_S9_NS6_6detail15normal_iteratorINS6_10device_ptrIiEEEENSD_INSE_IfEEEESG_SI_PmS8_NS6_8equal_toIiEEEE10hipError_tPvRmT2_T3_mT4_T5_T6_T7_T8_P12ihipStream_tbENKUlT_T0_E_clISt17integral_constantIbLb1EES12_IbLb0EEEEDaSY_SZ_EUlSY_E_NS1_11comp_targetILNS1_3genE8ELNS1_11target_archE1030ELNS1_3gpuE2ELNS1_3repE0EEENS1_30default_config_static_selectorELNS0_4arch9wavefront6targetE0EEEvT1_
	.p2align	8
	.type	_ZN7rocprim17ROCPRIM_400000_NS6detail17trampoline_kernelINS0_14default_configENS1_29reduce_by_key_config_selectorIifN6thrust23THRUST_200600_302600_NS4plusIfEEEEZZNS1_33reduce_by_key_impl_wrapped_configILNS1_25lookback_scan_determinismE0ES3_S9_NS6_6detail15normal_iteratorINS6_10device_ptrIiEEEENSD_INSE_IfEEEESG_SI_PmS8_NS6_8equal_toIiEEEE10hipError_tPvRmT2_T3_mT4_T5_T6_T7_T8_P12ihipStream_tbENKUlT_T0_E_clISt17integral_constantIbLb1EES12_IbLb0EEEEDaSY_SZ_EUlSY_E_NS1_11comp_targetILNS1_3genE8ELNS1_11target_archE1030ELNS1_3gpuE2ELNS1_3repE0EEENS1_30default_config_static_selectorELNS0_4arch9wavefront6targetE0EEEvT1_,@function
_ZN7rocprim17ROCPRIM_400000_NS6detail17trampoline_kernelINS0_14default_configENS1_29reduce_by_key_config_selectorIifN6thrust23THRUST_200600_302600_NS4plusIfEEEEZZNS1_33reduce_by_key_impl_wrapped_configILNS1_25lookback_scan_determinismE0ES3_S9_NS6_6detail15normal_iteratorINS6_10device_ptrIiEEEENSD_INSE_IfEEEESG_SI_PmS8_NS6_8equal_toIiEEEE10hipError_tPvRmT2_T3_mT4_T5_T6_T7_T8_P12ihipStream_tbENKUlT_T0_E_clISt17integral_constantIbLb1EES12_IbLb0EEEEDaSY_SZ_EUlSY_E_NS1_11comp_targetILNS1_3genE8ELNS1_11target_archE1030ELNS1_3gpuE2ELNS1_3repE0EEENS1_30default_config_static_selectorELNS0_4arch9wavefront6targetE0EEEvT1_: ; @_ZN7rocprim17ROCPRIM_400000_NS6detail17trampoline_kernelINS0_14default_configENS1_29reduce_by_key_config_selectorIifN6thrust23THRUST_200600_302600_NS4plusIfEEEEZZNS1_33reduce_by_key_impl_wrapped_configILNS1_25lookback_scan_determinismE0ES3_S9_NS6_6detail15normal_iteratorINS6_10device_ptrIiEEEENSD_INSE_IfEEEESG_SI_PmS8_NS6_8equal_toIiEEEE10hipError_tPvRmT2_T3_mT4_T5_T6_T7_T8_P12ihipStream_tbENKUlT_T0_E_clISt17integral_constantIbLb1EES12_IbLb0EEEEDaSY_SZ_EUlSY_E_NS1_11comp_targetILNS1_3genE8ELNS1_11target_archE1030ELNS1_3gpuE2ELNS1_3repE0EEENS1_30default_config_static_selectorELNS0_4arch9wavefront6targetE0EEEvT1_
; %bb.0:
	s_endpgm
	.section	.rodata,"a",@progbits
	.p2align	6, 0x0
	.amdhsa_kernel _ZN7rocprim17ROCPRIM_400000_NS6detail17trampoline_kernelINS0_14default_configENS1_29reduce_by_key_config_selectorIifN6thrust23THRUST_200600_302600_NS4plusIfEEEEZZNS1_33reduce_by_key_impl_wrapped_configILNS1_25lookback_scan_determinismE0ES3_S9_NS6_6detail15normal_iteratorINS6_10device_ptrIiEEEENSD_INSE_IfEEEESG_SI_PmS8_NS6_8equal_toIiEEEE10hipError_tPvRmT2_T3_mT4_T5_T6_T7_T8_P12ihipStream_tbENKUlT_T0_E_clISt17integral_constantIbLb1EES12_IbLb0EEEEDaSY_SZ_EUlSY_E_NS1_11comp_targetILNS1_3genE8ELNS1_11target_archE1030ELNS1_3gpuE2ELNS1_3repE0EEENS1_30default_config_static_selectorELNS0_4arch9wavefront6targetE0EEEvT1_
		.amdhsa_group_segment_fixed_size 0
		.amdhsa_private_segment_fixed_size 0
		.amdhsa_kernarg_size 120
		.amdhsa_user_sgpr_count 6
		.amdhsa_user_sgpr_private_segment_buffer 1
		.amdhsa_user_sgpr_dispatch_ptr 0
		.amdhsa_user_sgpr_queue_ptr 0
		.amdhsa_user_sgpr_kernarg_segment_ptr 1
		.amdhsa_user_sgpr_dispatch_id 0
		.amdhsa_user_sgpr_flat_scratch_init 0
		.amdhsa_user_sgpr_private_segment_size 0
		.amdhsa_wavefront_size32 1
		.amdhsa_uses_dynamic_stack 0
		.amdhsa_system_sgpr_private_segment_wavefront_offset 0
		.amdhsa_system_sgpr_workgroup_id_x 1
		.amdhsa_system_sgpr_workgroup_id_y 0
		.amdhsa_system_sgpr_workgroup_id_z 0
		.amdhsa_system_sgpr_workgroup_info 0
		.amdhsa_system_vgpr_workitem_id 0
		.amdhsa_next_free_vgpr 1
		.amdhsa_next_free_sgpr 1
		.amdhsa_reserve_vcc 0
		.amdhsa_reserve_flat_scratch 0
		.amdhsa_float_round_mode_32 0
		.amdhsa_float_round_mode_16_64 0
		.amdhsa_float_denorm_mode_32 3
		.amdhsa_float_denorm_mode_16_64 3
		.amdhsa_dx10_clamp 1
		.amdhsa_ieee_mode 1
		.amdhsa_fp16_overflow 0
		.amdhsa_workgroup_processor_mode 1
		.amdhsa_memory_ordered 1
		.amdhsa_forward_progress 1
		.amdhsa_shared_vgpr_count 0
		.amdhsa_exception_fp_ieee_invalid_op 0
		.amdhsa_exception_fp_denorm_src 0
		.amdhsa_exception_fp_ieee_div_zero 0
		.amdhsa_exception_fp_ieee_overflow 0
		.amdhsa_exception_fp_ieee_underflow 0
		.amdhsa_exception_fp_ieee_inexact 0
		.amdhsa_exception_int_div_zero 0
	.end_amdhsa_kernel
	.section	.text._ZN7rocprim17ROCPRIM_400000_NS6detail17trampoline_kernelINS0_14default_configENS1_29reduce_by_key_config_selectorIifN6thrust23THRUST_200600_302600_NS4plusIfEEEEZZNS1_33reduce_by_key_impl_wrapped_configILNS1_25lookback_scan_determinismE0ES3_S9_NS6_6detail15normal_iteratorINS6_10device_ptrIiEEEENSD_INSE_IfEEEESG_SI_PmS8_NS6_8equal_toIiEEEE10hipError_tPvRmT2_T3_mT4_T5_T6_T7_T8_P12ihipStream_tbENKUlT_T0_E_clISt17integral_constantIbLb1EES12_IbLb0EEEEDaSY_SZ_EUlSY_E_NS1_11comp_targetILNS1_3genE8ELNS1_11target_archE1030ELNS1_3gpuE2ELNS1_3repE0EEENS1_30default_config_static_selectorELNS0_4arch9wavefront6targetE0EEEvT1_,"axG",@progbits,_ZN7rocprim17ROCPRIM_400000_NS6detail17trampoline_kernelINS0_14default_configENS1_29reduce_by_key_config_selectorIifN6thrust23THRUST_200600_302600_NS4plusIfEEEEZZNS1_33reduce_by_key_impl_wrapped_configILNS1_25lookback_scan_determinismE0ES3_S9_NS6_6detail15normal_iteratorINS6_10device_ptrIiEEEENSD_INSE_IfEEEESG_SI_PmS8_NS6_8equal_toIiEEEE10hipError_tPvRmT2_T3_mT4_T5_T6_T7_T8_P12ihipStream_tbENKUlT_T0_E_clISt17integral_constantIbLb1EES12_IbLb0EEEEDaSY_SZ_EUlSY_E_NS1_11comp_targetILNS1_3genE8ELNS1_11target_archE1030ELNS1_3gpuE2ELNS1_3repE0EEENS1_30default_config_static_selectorELNS0_4arch9wavefront6targetE0EEEvT1_,comdat
.Lfunc_end94:
	.size	_ZN7rocprim17ROCPRIM_400000_NS6detail17trampoline_kernelINS0_14default_configENS1_29reduce_by_key_config_selectorIifN6thrust23THRUST_200600_302600_NS4plusIfEEEEZZNS1_33reduce_by_key_impl_wrapped_configILNS1_25lookback_scan_determinismE0ES3_S9_NS6_6detail15normal_iteratorINS6_10device_ptrIiEEEENSD_INSE_IfEEEESG_SI_PmS8_NS6_8equal_toIiEEEE10hipError_tPvRmT2_T3_mT4_T5_T6_T7_T8_P12ihipStream_tbENKUlT_T0_E_clISt17integral_constantIbLb1EES12_IbLb0EEEEDaSY_SZ_EUlSY_E_NS1_11comp_targetILNS1_3genE8ELNS1_11target_archE1030ELNS1_3gpuE2ELNS1_3repE0EEENS1_30default_config_static_selectorELNS0_4arch9wavefront6targetE0EEEvT1_, .Lfunc_end94-_ZN7rocprim17ROCPRIM_400000_NS6detail17trampoline_kernelINS0_14default_configENS1_29reduce_by_key_config_selectorIifN6thrust23THRUST_200600_302600_NS4plusIfEEEEZZNS1_33reduce_by_key_impl_wrapped_configILNS1_25lookback_scan_determinismE0ES3_S9_NS6_6detail15normal_iteratorINS6_10device_ptrIiEEEENSD_INSE_IfEEEESG_SI_PmS8_NS6_8equal_toIiEEEE10hipError_tPvRmT2_T3_mT4_T5_T6_T7_T8_P12ihipStream_tbENKUlT_T0_E_clISt17integral_constantIbLb1EES12_IbLb0EEEEDaSY_SZ_EUlSY_E_NS1_11comp_targetILNS1_3genE8ELNS1_11target_archE1030ELNS1_3gpuE2ELNS1_3repE0EEENS1_30default_config_static_selectorELNS0_4arch9wavefront6targetE0EEEvT1_
                                        ; -- End function
	.set _ZN7rocprim17ROCPRIM_400000_NS6detail17trampoline_kernelINS0_14default_configENS1_29reduce_by_key_config_selectorIifN6thrust23THRUST_200600_302600_NS4plusIfEEEEZZNS1_33reduce_by_key_impl_wrapped_configILNS1_25lookback_scan_determinismE0ES3_S9_NS6_6detail15normal_iteratorINS6_10device_ptrIiEEEENSD_INSE_IfEEEESG_SI_PmS8_NS6_8equal_toIiEEEE10hipError_tPvRmT2_T3_mT4_T5_T6_T7_T8_P12ihipStream_tbENKUlT_T0_E_clISt17integral_constantIbLb1EES12_IbLb0EEEEDaSY_SZ_EUlSY_E_NS1_11comp_targetILNS1_3genE8ELNS1_11target_archE1030ELNS1_3gpuE2ELNS1_3repE0EEENS1_30default_config_static_selectorELNS0_4arch9wavefront6targetE0EEEvT1_.num_vgpr, 0
	.set _ZN7rocprim17ROCPRIM_400000_NS6detail17trampoline_kernelINS0_14default_configENS1_29reduce_by_key_config_selectorIifN6thrust23THRUST_200600_302600_NS4plusIfEEEEZZNS1_33reduce_by_key_impl_wrapped_configILNS1_25lookback_scan_determinismE0ES3_S9_NS6_6detail15normal_iteratorINS6_10device_ptrIiEEEENSD_INSE_IfEEEESG_SI_PmS8_NS6_8equal_toIiEEEE10hipError_tPvRmT2_T3_mT4_T5_T6_T7_T8_P12ihipStream_tbENKUlT_T0_E_clISt17integral_constantIbLb1EES12_IbLb0EEEEDaSY_SZ_EUlSY_E_NS1_11comp_targetILNS1_3genE8ELNS1_11target_archE1030ELNS1_3gpuE2ELNS1_3repE0EEENS1_30default_config_static_selectorELNS0_4arch9wavefront6targetE0EEEvT1_.num_agpr, 0
	.set _ZN7rocprim17ROCPRIM_400000_NS6detail17trampoline_kernelINS0_14default_configENS1_29reduce_by_key_config_selectorIifN6thrust23THRUST_200600_302600_NS4plusIfEEEEZZNS1_33reduce_by_key_impl_wrapped_configILNS1_25lookback_scan_determinismE0ES3_S9_NS6_6detail15normal_iteratorINS6_10device_ptrIiEEEENSD_INSE_IfEEEESG_SI_PmS8_NS6_8equal_toIiEEEE10hipError_tPvRmT2_T3_mT4_T5_T6_T7_T8_P12ihipStream_tbENKUlT_T0_E_clISt17integral_constantIbLb1EES12_IbLb0EEEEDaSY_SZ_EUlSY_E_NS1_11comp_targetILNS1_3genE8ELNS1_11target_archE1030ELNS1_3gpuE2ELNS1_3repE0EEENS1_30default_config_static_selectorELNS0_4arch9wavefront6targetE0EEEvT1_.numbered_sgpr, 0
	.set _ZN7rocprim17ROCPRIM_400000_NS6detail17trampoline_kernelINS0_14default_configENS1_29reduce_by_key_config_selectorIifN6thrust23THRUST_200600_302600_NS4plusIfEEEEZZNS1_33reduce_by_key_impl_wrapped_configILNS1_25lookback_scan_determinismE0ES3_S9_NS6_6detail15normal_iteratorINS6_10device_ptrIiEEEENSD_INSE_IfEEEESG_SI_PmS8_NS6_8equal_toIiEEEE10hipError_tPvRmT2_T3_mT4_T5_T6_T7_T8_P12ihipStream_tbENKUlT_T0_E_clISt17integral_constantIbLb1EES12_IbLb0EEEEDaSY_SZ_EUlSY_E_NS1_11comp_targetILNS1_3genE8ELNS1_11target_archE1030ELNS1_3gpuE2ELNS1_3repE0EEENS1_30default_config_static_selectorELNS0_4arch9wavefront6targetE0EEEvT1_.num_named_barrier, 0
	.set _ZN7rocprim17ROCPRIM_400000_NS6detail17trampoline_kernelINS0_14default_configENS1_29reduce_by_key_config_selectorIifN6thrust23THRUST_200600_302600_NS4plusIfEEEEZZNS1_33reduce_by_key_impl_wrapped_configILNS1_25lookback_scan_determinismE0ES3_S9_NS6_6detail15normal_iteratorINS6_10device_ptrIiEEEENSD_INSE_IfEEEESG_SI_PmS8_NS6_8equal_toIiEEEE10hipError_tPvRmT2_T3_mT4_T5_T6_T7_T8_P12ihipStream_tbENKUlT_T0_E_clISt17integral_constantIbLb1EES12_IbLb0EEEEDaSY_SZ_EUlSY_E_NS1_11comp_targetILNS1_3genE8ELNS1_11target_archE1030ELNS1_3gpuE2ELNS1_3repE0EEENS1_30default_config_static_selectorELNS0_4arch9wavefront6targetE0EEEvT1_.private_seg_size, 0
	.set _ZN7rocprim17ROCPRIM_400000_NS6detail17trampoline_kernelINS0_14default_configENS1_29reduce_by_key_config_selectorIifN6thrust23THRUST_200600_302600_NS4plusIfEEEEZZNS1_33reduce_by_key_impl_wrapped_configILNS1_25lookback_scan_determinismE0ES3_S9_NS6_6detail15normal_iteratorINS6_10device_ptrIiEEEENSD_INSE_IfEEEESG_SI_PmS8_NS6_8equal_toIiEEEE10hipError_tPvRmT2_T3_mT4_T5_T6_T7_T8_P12ihipStream_tbENKUlT_T0_E_clISt17integral_constantIbLb1EES12_IbLb0EEEEDaSY_SZ_EUlSY_E_NS1_11comp_targetILNS1_3genE8ELNS1_11target_archE1030ELNS1_3gpuE2ELNS1_3repE0EEENS1_30default_config_static_selectorELNS0_4arch9wavefront6targetE0EEEvT1_.uses_vcc, 0
	.set _ZN7rocprim17ROCPRIM_400000_NS6detail17trampoline_kernelINS0_14default_configENS1_29reduce_by_key_config_selectorIifN6thrust23THRUST_200600_302600_NS4plusIfEEEEZZNS1_33reduce_by_key_impl_wrapped_configILNS1_25lookback_scan_determinismE0ES3_S9_NS6_6detail15normal_iteratorINS6_10device_ptrIiEEEENSD_INSE_IfEEEESG_SI_PmS8_NS6_8equal_toIiEEEE10hipError_tPvRmT2_T3_mT4_T5_T6_T7_T8_P12ihipStream_tbENKUlT_T0_E_clISt17integral_constantIbLb1EES12_IbLb0EEEEDaSY_SZ_EUlSY_E_NS1_11comp_targetILNS1_3genE8ELNS1_11target_archE1030ELNS1_3gpuE2ELNS1_3repE0EEENS1_30default_config_static_selectorELNS0_4arch9wavefront6targetE0EEEvT1_.uses_flat_scratch, 0
	.set _ZN7rocprim17ROCPRIM_400000_NS6detail17trampoline_kernelINS0_14default_configENS1_29reduce_by_key_config_selectorIifN6thrust23THRUST_200600_302600_NS4plusIfEEEEZZNS1_33reduce_by_key_impl_wrapped_configILNS1_25lookback_scan_determinismE0ES3_S9_NS6_6detail15normal_iteratorINS6_10device_ptrIiEEEENSD_INSE_IfEEEESG_SI_PmS8_NS6_8equal_toIiEEEE10hipError_tPvRmT2_T3_mT4_T5_T6_T7_T8_P12ihipStream_tbENKUlT_T0_E_clISt17integral_constantIbLb1EES12_IbLb0EEEEDaSY_SZ_EUlSY_E_NS1_11comp_targetILNS1_3genE8ELNS1_11target_archE1030ELNS1_3gpuE2ELNS1_3repE0EEENS1_30default_config_static_selectorELNS0_4arch9wavefront6targetE0EEEvT1_.has_dyn_sized_stack, 0
	.set _ZN7rocprim17ROCPRIM_400000_NS6detail17trampoline_kernelINS0_14default_configENS1_29reduce_by_key_config_selectorIifN6thrust23THRUST_200600_302600_NS4plusIfEEEEZZNS1_33reduce_by_key_impl_wrapped_configILNS1_25lookback_scan_determinismE0ES3_S9_NS6_6detail15normal_iteratorINS6_10device_ptrIiEEEENSD_INSE_IfEEEESG_SI_PmS8_NS6_8equal_toIiEEEE10hipError_tPvRmT2_T3_mT4_T5_T6_T7_T8_P12ihipStream_tbENKUlT_T0_E_clISt17integral_constantIbLb1EES12_IbLb0EEEEDaSY_SZ_EUlSY_E_NS1_11comp_targetILNS1_3genE8ELNS1_11target_archE1030ELNS1_3gpuE2ELNS1_3repE0EEENS1_30default_config_static_selectorELNS0_4arch9wavefront6targetE0EEEvT1_.has_recursion, 0
	.set _ZN7rocprim17ROCPRIM_400000_NS6detail17trampoline_kernelINS0_14default_configENS1_29reduce_by_key_config_selectorIifN6thrust23THRUST_200600_302600_NS4plusIfEEEEZZNS1_33reduce_by_key_impl_wrapped_configILNS1_25lookback_scan_determinismE0ES3_S9_NS6_6detail15normal_iteratorINS6_10device_ptrIiEEEENSD_INSE_IfEEEESG_SI_PmS8_NS6_8equal_toIiEEEE10hipError_tPvRmT2_T3_mT4_T5_T6_T7_T8_P12ihipStream_tbENKUlT_T0_E_clISt17integral_constantIbLb1EES12_IbLb0EEEEDaSY_SZ_EUlSY_E_NS1_11comp_targetILNS1_3genE8ELNS1_11target_archE1030ELNS1_3gpuE2ELNS1_3repE0EEENS1_30default_config_static_selectorELNS0_4arch9wavefront6targetE0EEEvT1_.has_indirect_call, 0
	.section	.AMDGPU.csdata,"",@progbits
; Kernel info:
; codeLenInByte = 4
; TotalNumSgprs: 0
; NumVgprs: 0
; ScratchSize: 0
; MemoryBound: 0
; FloatMode: 240
; IeeeMode: 1
; LDSByteSize: 0 bytes/workgroup (compile time only)
; SGPRBlocks: 0
; VGPRBlocks: 0
; NumSGPRsForWavesPerEU: 1
; NumVGPRsForWavesPerEU: 1
; Occupancy: 16
; WaveLimiterHint : 0
; COMPUTE_PGM_RSRC2:SCRATCH_EN: 0
; COMPUTE_PGM_RSRC2:USER_SGPR: 6
; COMPUTE_PGM_RSRC2:TRAP_HANDLER: 0
; COMPUTE_PGM_RSRC2:TGID_X_EN: 1
; COMPUTE_PGM_RSRC2:TGID_Y_EN: 0
; COMPUTE_PGM_RSRC2:TGID_Z_EN: 0
; COMPUTE_PGM_RSRC2:TIDIG_COMP_CNT: 0
	.section	.text._ZN7rocprim17ROCPRIM_400000_NS6detail25reduce_by_key_init_kernelINS1_19lookback_scan_stateINS0_5tupleIJjfEEELb0ELb1EEEfNS1_16block_id_wrapperIjLb1EEEEEvT_jbjPmPT0_T1_,"axG",@progbits,_ZN7rocprim17ROCPRIM_400000_NS6detail25reduce_by_key_init_kernelINS1_19lookback_scan_stateINS0_5tupleIJjfEEELb0ELb1EEEfNS1_16block_id_wrapperIjLb1EEEEEvT_jbjPmPT0_T1_,comdat
	.protected	_ZN7rocprim17ROCPRIM_400000_NS6detail25reduce_by_key_init_kernelINS1_19lookback_scan_stateINS0_5tupleIJjfEEELb0ELb1EEEfNS1_16block_id_wrapperIjLb1EEEEEvT_jbjPmPT0_T1_ ; -- Begin function _ZN7rocprim17ROCPRIM_400000_NS6detail25reduce_by_key_init_kernelINS1_19lookback_scan_stateINS0_5tupleIJjfEEELb0ELb1EEEfNS1_16block_id_wrapperIjLb1EEEEEvT_jbjPmPT0_T1_
	.globl	_ZN7rocprim17ROCPRIM_400000_NS6detail25reduce_by_key_init_kernelINS1_19lookback_scan_stateINS0_5tupleIJjfEEELb0ELb1EEEfNS1_16block_id_wrapperIjLb1EEEEEvT_jbjPmPT0_T1_
	.p2align	8
	.type	_ZN7rocprim17ROCPRIM_400000_NS6detail25reduce_by_key_init_kernelINS1_19lookback_scan_stateINS0_5tupleIJjfEEELb0ELb1EEEfNS1_16block_id_wrapperIjLb1EEEEEvT_jbjPmPT0_T1_,@function
_ZN7rocprim17ROCPRIM_400000_NS6detail25reduce_by_key_init_kernelINS1_19lookback_scan_stateINS0_5tupleIJjfEEELb0ELb1EEEfNS1_16block_id_wrapperIjLb1EEEEEvT_jbjPmPT0_T1_: ; @_ZN7rocprim17ROCPRIM_400000_NS6detail25reduce_by_key_init_kernelINS1_19lookback_scan_stateINS0_5tupleIJjfEEELb0ELb1EEEfNS1_16block_id_wrapperIjLb1EEEEEvT_jbjPmPT0_T1_
; %bb.0:
	s_clause 0x3
	s_load_dword s0, s[4:5], 0x3c
	s_load_dwordx8 s[8:15], s[4:5], 0x8
	s_load_dwordx2 s[16:17], s[4:5], 0x28
	s_load_dwordx2 s[2:3], s[4:5], 0x0
	s_mov_b32 s1, -1
	s_waitcnt lgkmcnt(0)
	s_and_b32 s0, s0, 0xffff
	v_mad_u64_u32 v[0:1], null, s6, s0, v[0:1]
	s_and_b32 s0, s9, 1
	s_cmp_eq_u32 s0, 0
	s_cbranch_scc0 .LBB95_8
; %bb.1:
	s_cmp_lt_u32 s10, s8
	s_mov_b32 s6, exec_lo
	s_cselect_b32 s0, s10, 0
	v_cmpx_eq_u32_e64 s0, v0
	s_cbranch_execz .LBB95_7
; %bb.2:
	s_add_i32 s0, s10, 32
	s_mov_b32 s1, 0
	v_mov_b32_e32 v10, 0
	s_lshl_b64 s[4:5], s[0:1], 4
	s_mov_b32 s0, exec_lo
	s_add_u32 s4, s2, s4
	s_addc_u32 s5, s3, s5
	v_mov_b32_e32 v1, s4
	v_mov_b32_e32 v2, s5
	;;#ASMSTART
	global_load_dwordx4 v[1:4], v[1:2] off glc dlc	
s_waitcnt vmcnt(0)
	;;#ASMEND
	v_and_b32_e32 v9, 0xff, v3
	v_lshrrev_b64 v[7:8], 8, v[1:2]
	v_lshrrev_b64 v[5:6], 16, v[1:2]
	;; [unrolled: 1-line block ×3, first 2 shown]
	v_cmpx_eq_u64_e32 0, v[9:10]
	s_cbranch_execz .LBB95_6
; %bb.3:
	v_mov_b32_e32 v6, s5
	v_mov_b32_e32 v5, s4
.LBB95_4:                               ; =>This Inner Loop Header: Depth=1
	;;#ASMSTART
	global_load_dwordx4 v[1:4], v[5:6] off glc dlc	
s_waitcnt vmcnt(0)
	;;#ASMEND
	v_and_b32_e32 v9, 0xff, v3
	v_cmp_ne_u64_e32 vcc_lo, 0, v[9:10]
	s_or_b32 s1, vcc_lo, s1
	s_andn2_b32 exec_lo, exec_lo, s1
	s_cbranch_execnz .LBB95_4
; %bb.5:
	s_or_b32 exec_lo, exec_lo, s1
	v_lshrrev_b64 v[3:4], 24, v[1:2]
	v_lshrrev_b64 v[5:6], 16, v[1:2]
	;; [unrolled: 1-line block ×3, first 2 shown]
.LBB95_6:
	s_or_b32 exec_lo, exec_lo, s0
	v_mov_b32_e32 v6, 0
	v_lshlrev_b32_e32 v4, 8, v7
	v_lshlrev_b32_e32 v5, 16, v5
	;; [unrolled: 1-line block ×3, first 2 shown]
	global_load_dwordx2 v[8:9], v6, s[12:13]
	v_perm_b32 v1, v4, v1, 0xc0c0500
	v_and_or_b32 v1, 0xff0000, v5, v1
	s_waitcnt vmcnt(0)
	v_add_co_u32 v1, vcc_lo, v1, v8
	v_add_co_ci_u32_e64 v4, null, 0, v9, vcc_lo
	v_add_co_u32 v3, vcc_lo, v1, v3
	v_add_co_ci_u32_e64 v4, null, 0, v4, vcc_lo
	global_store_dwordx2 v6, v[3:4], s[12:13]
	global_store_dword v6, v2, s[14:15]
.LBB95_7:
	s_or_b32 exec_lo, exec_lo, s6
	s_mov_b32 s1, 0
.LBB95_8:
	v_cmp_eq_u32_e64 s0, 0, v0
	s_andn2_b32 vcc_lo, exec_lo, s1
	s_cbranch_vccnz .LBB95_12
; %bb.9:
	s_cmp_lg_u64 s[12:13], 0
	s_cselect_b32 s1, -1, 0
	s_and_b32 s1, s1, s0
	s_and_saveexec_b32 s0, s1
	s_cbranch_execz .LBB95_11
; %bb.10:
	v_mov_b32_e32 v1, 0
	v_mov_b32_e32 v2, v1
	global_store_dwordx2 v1, v[1:2], s[12:13]
.LBB95_11:
	s_or_b32 exec_lo, exec_lo, s0
.LBB95_12:
	s_mov_b32 s0, exec_lo
	v_cmpx_eq_u32_e32 0, v0
	s_cbranch_execz .LBB95_14
; %bb.13:
	v_mov_b32_e32 v1, 0
	global_store_dword v1, v1, s[16:17]
.LBB95_14:
	s_or_b32 exec_lo, exec_lo, s0
	s_mov_b32 s0, exec_lo
	v_cmpx_gt_u32_e64 s8, v0
	s_cbranch_execz .LBB95_16
; %bb.15:
	v_add_nc_u32_e32 v1, 32, v0
	v_mov_b32_e32 v2, 0
	v_lshlrev_b64 v[4:5], 4, v[1:2]
	v_mov_b32_e32 v1, v2
	v_mov_b32_e32 v3, v2
	v_add_co_u32 v6, vcc_lo, s2, v4
	v_add_co_ci_u32_e64 v7, null, s3, v5, vcc_lo
	v_mov_b32_e32 v4, v2
	global_store_dwordx4 v[6:7], v[1:4], off
.LBB95_16:
	s_or_b32 exec_lo, exec_lo, s0
	s_mov_b32 s0, exec_lo
	v_cmpx_gt_u32_e32 32, v0
	s_cbranch_execz .LBB95_18
; %bb.17:
	v_mov_b32_e32 v1, 0
	v_mov_b32_e32 v2, 0xff
	v_lshlrev_b64 v[3:4], 4, v[0:1]
	v_mov_b32_e32 v0, v1
	v_add_co_u32 v5, vcc_lo, s2, v3
	v_add_co_ci_u32_e64 v6, null, s3, v4, vcc_lo
	v_mov_b32_e32 v3, v1
	global_store_dwordx4 v[5:6], v[0:3], off
.LBB95_18:
	s_endpgm
	.section	.rodata,"a",@progbits
	.p2align	6, 0x0
	.amdhsa_kernel _ZN7rocprim17ROCPRIM_400000_NS6detail25reduce_by_key_init_kernelINS1_19lookback_scan_stateINS0_5tupleIJjfEEELb0ELb1EEEfNS1_16block_id_wrapperIjLb1EEEEEvT_jbjPmPT0_T1_
		.amdhsa_group_segment_fixed_size 0
		.amdhsa_private_segment_fixed_size 0
		.amdhsa_kernarg_size 304
		.amdhsa_user_sgpr_count 6
		.amdhsa_user_sgpr_private_segment_buffer 1
		.amdhsa_user_sgpr_dispatch_ptr 0
		.amdhsa_user_sgpr_queue_ptr 0
		.amdhsa_user_sgpr_kernarg_segment_ptr 1
		.amdhsa_user_sgpr_dispatch_id 0
		.amdhsa_user_sgpr_flat_scratch_init 0
		.amdhsa_user_sgpr_private_segment_size 0
		.amdhsa_wavefront_size32 1
		.amdhsa_uses_dynamic_stack 0
		.amdhsa_system_sgpr_private_segment_wavefront_offset 0
		.amdhsa_system_sgpr_workgroup_id_x 1
		.amdhsa_system_sgpr_workgroup_id_y 0
		.amdhsa_system_sgpr_workgroup_id_z 0
		.amdhsa_system_sgpr_workgroup_info 0
		.amdhsa_system_vgpr_workitem_id 0
		.amdhsa_next_free_vgpr 11
		.amdhsa_next_free_sgpr 18
		.amdhsa_reserve_vcc 1
		.amdhsa_reserve_flat_scratch 0
		.amdhsa_float_round_mode_32 0
		.amdhsa_float_round_mode_16_64 0
		.amdhsa_float_denorm_mode_32 3
		.amdhsa_float_denorm_mode_16_64 3
		.amdhsa_dx10_clamp 1
		.amdhsa_ieee_mode 1
		.amdhsa_fp16_overflow 0
		.amdhsa_workgroup_processor_mode 1
		.amdhsa_memory_ordered 1
		.amdhsa_forward_progress 1
		.amdhsa_shared_vgpr_count 0
		.amdhsa_exception_fp_ieee_invalid_op 0
		.amdhsa_exception_fp_denorm_src 0
		.amdhsa_exception_fp_ieee_div_zero 0
		.amdhsa_exception_fp_ieee_overflow 0
		.amdhsa_exception_fp_ieee_underflow 0
		.amdhsa_exception_fp_ieee_inexact 0
		.amdhsa_exception_int_div_zero 0
	.end_amdhsa_kernel
	.section	.text._ZN7rocprim17ROCPRIM_400000_NS6detail25reduce_by_key_init_kernelINS1_19lookback_scan_stateINS0_5tupleIJjfEEELb0ELb1EEEfNS1_16block_id_wrapperIjLb1EEEEEvT_jbjPmPT0_T1_,"axG",@progbits,_ZN7rocprim17ROCPRIM_400000_NS6detail25reduce_by_key_init_kernelINS1_19lookback_scan_stateINS0_5tupleIJjfEEELb0ELb1EEEfNS1_16block_id_wrapperIjLb1EEEEEvT_jbjPmPT0_T1_,comdat
.Lfunc_end95:
	.size	_ZN7rocprim17ROCPRIM_400000_NS6detail25reduce_by_key_init_kernelINS1_19lookback_scan_stateINS0_5tupleIJjfEEELb0ELb1EEEfNS1_16block_id_wrapperIjLb1EEEEEvT_jbjPmPT0_T1_, .Lfunc_end95-_ZN7rocprim17ROCPRIM_400000_NS6detail25reduce_by_key_init_kernelINS1_19lookback_scan_stateINS0_5tupleIJjfEEELb0ELb1EEEfNS1_16block_id_wrapperIjLb1EEEEEvT_jbjPmPT0_T1_
                                        ; -- End function
	.set _ZN7rocprim17ROCPRIM_400000_NS6detail25reduce_by_key_init_kernelINS1_19lookback_scan_stateINS0_5tupleIJjfEEELb0ELb1EEEfNS1_16block_id_wrapperIjLb1EEEEEvT_jbjPmPT0_T1_.num_vgpr, 11
	.set _ZN7rocprim17ROCPRIM_400000_NS6detail25reduce_by_key_init_kernelINS1_19lookback_scan_stateINS0_5tupleIJjfEEELb0ELb1EEEfNS1_16block_id_wrapperIjLb1EEEEEvT_jbjPmPT0_T1_.num_agpr, 0
	.set _ZN7rocprim17ROCPRIM_400000_NS6detail25reduce_by_key_init_kernelINS1_19lookback_scan_stateINS0_5tupleIJjfEEELb0ELb1EEEfNS1_16block_id_wrapperIjLb1EEEEEvT_jbjPmPT0_T1_.numbered_sgpr, 18
	.set _ZN7rocprim17ROCPRIM_400000_NS6detail25reduce_by_key_init_kernelINS1_19lookback_scan_stateINS0_5tupleIJjfEEELb0ELb1EEEfNS1_16block_id_wrapperIjLb1EEEEEvT_jbjPmPT0_T1_.num_named_barrier, 0
	.set _ZN7rocprim17ROCPRIM_400000_NS6detail25reduce_by_key_init_kernelINS1_19lookback_scan_stateINS0_5tupleIJjfEEELb0ELb1EEEfNS1_16block_id_wrapperIjLb1EEEEEvT_jbjPmPT0_T1_.private_seg_size, 0
	.set _ZN7rocprim17ROCPRIM_400000_NS6detail25reduce_by_key_init_kernelINS1_19lookback_scan_stateINS0_5tupleIJjfEEELb0ELb1EEEfNS1_16block_id_wrapperIjLb1EEEEEvT_jbjPmPT0_T1_.uses_vcc, 1
	.set _ZN7rocprim17ROCPRIM_400000_NS6detail25reduce_by_key_init_kernelINS1_19lookback_scan_stateINS0_5tupleIJjfEEELb0ELb1EEEfNS1_16block_id_wrapperIjLb1EEEEEvT_jbjPmPT0_T1_.uses_flat_scratch, 0
	.set _ZN7rocprim17ROCPRIM_400000_NS6detail25reduce_by_key_init_kernelINS1_19lookback_scan_stateINS0_5tupleIJjfEEELb0ELb1EEEfNS1_16block_id_wrapperIjLb1EEEEEvT_jbjPmPT0_T1_.has_dyn_sized_stack, 0
	.set _ZN7rocprim17ROCPRIM_400000_NS6detail25reduce_by_key_init_kernelINS1_19lookback_scan_stateINS0_5tupleIJjfEEELb0ELb1EEEfNS1_16block_id_wrapperIjLb1EEEEEvT_jbjPmPT0_T1_.has_recursion, 0
	.set _ZN7rocprim17ROCPRIM_400000_NS6detail25reduce_by_key_init_kernelINS1_19lookback_scan_stateINS0_5tupleIJjfEEELb0ELb1EEEfNS1_16block_id_wrapperIjLb1EEEEEvT_jbjPmPT0_T1_.has_indirect_call, 0
	.section	.AMDGPU.csdata,"",@progbits
; Kernel info:
; codeLenInByte = 648
; TotalNumSgprs: 20
; NumVgprs: 11
; ScratchSize: 0
; MemoryBound: 0
; FloatMode: 240
; IeeeMode: 1
; LDSByteSize: 0 bytes/workgroup (compile time only)
; SGPRBlocks: 0
; VGPRBlocks: 1
; NumSGPRsForWavesPerEU: 20
; NumVGPRsForWavesPerEU: 11
; Occupancy: 16
; WaveLimiterHint : 0
; COMPUTE_PGM_RSRC2:SCRATCH_EN: 0
; COMPUTE_PGM_RSRC2:USER_SGPR: 6
; COMPUTE_PGM_RSRC2:TRAP_HANDLER: 0
; COMPUTE_PGM_RSRC2:TGID_X_EN: 1
; COMPUTE_PGM_RSRC2:TGID_Y_EN: 0
; COMPUTE_PGM_RSRC2:TGID_Z_EN: 0
; COMPUTE_PGM_RSRC2:TIDIG_COMP_CNT: 0
	.section	.text._ZN7rocprim17ROCPRIM_400000_NS6detail17trampoline_kernelINS0_14default_configENS1_29reduce_by_key_config_selectorIifN6thrust23THRUST_200600_302600_NS4plusIfEEEEZZNS1_33reduce_by_key_impl_wrapped_configILNS1_25lookback_scan_determinismE0ES3_S9_NS6_6detail15normal_iteratorINS6_10device_ptrIiEEEENSD_INSE_IfEEEESG_SI_PmS8_NS6_8equal_toIiEEEE10hipError_tPvRmT2_T3_mT4_T5_T6_T7_T8_P12ihipStream_tbENKUlT_T0_E_clISt17integral_constantIbLb0EES12_IbLb1EEEEDaSY_SZ_EUlSY_E_NS1_11comp_targetILNS1_3genE0ELNS1_11target_archE4294967295ELNS1_3gpuE0ELNS1_3repE0EEENS1_30default_config_static_selectorELNS0_4arch9wavefront6targetE0EEEvT1_,"axG",@progbits,_ZN7rocprim17ROCPRIM_400000_NS6detail17trampoline_kernelINS0_14default_configENS1_29reduce_by_key_config_selectorIifN6thrust23THRUST_200600_302600_NS4plusIfEEEEZZNS1_33reduce_by_key_impl_wrapped_configILNS1_25lookback_scan_determinismE0ES3_S9_NS6_6detail15normal_iteratorINS6_10device_ptrIiEEEENSD_INSE_IfEEEESG_SI_PmS8_NS6_8equal_toIiEEEE10hipError_tPvRmT2_T3_mT4_T5_T6_T7_T8_P12ihipStream_tbENKUlT_T0_E_clISt17integral_constantIbLb0EES12_IbLb1EEEEDaSY_SZ_EUlSY_E_NS1_11comp_targetILNS1_3genE0ELNS1_11target_archE4294967295ELNS1_3gpuE0ELNS1_3repE0EEENS1_30default_config_static_selectorELNS0_4arch9wavefront6targetE0EEEvT1_,comdat
	.protected	_ZN7rocprim17ROCPRIM_400000_NS6detail17trampoline_kernelINS0_14default_configENS1_29reduce_by_key_config_selectorIifN6thrust23THRUST_200600_302600_NS4plusIfEEEEZZNS1_33reduce_by_key_impl_wrapped_configILNS1_25lookback_scan_determinismE0ES3_S9_NS6_6detail15normal_iteratorINS6_10device_ptrIiEEEENSD_INSE_IfEEEESG_SI_PmS8_NS6_8equal_toIiEEEE10hipError_tPvRmT2_T3_mT4_T5_T6_T7_T8_P12ihipStream_tbENKUlT_T0_E_clISt17integral_constantIbLb0EES12_IbLb1EEEEDaSY_SZ_EUlSY_E_NS1_11comp_targetILNS1_3genE0ELNS1_11target_archE4294967295ELNS1_3gpuE0ELNS1_3repE0EEENS1_30default_config_static_selectorELNS0_4arch9wavefront6targetE0EEEvT1_ ; -- Begin function _ZN7rocprim17ROCPRIM_400000_NS6detail17trampoline_kernelINS0_14default_configENS1_29reduce_by_key_config_selectorIifN6thrust23THRUST_200600_302600_NS4plusIfEEEEZZNS1_33reduce_by_key_impl_wrapped_configILNS1_25lookback_scan_determinismE0ES3_S9_NS6_6detail15normal_iteratorINS6_10device_ptrIiEEEENSD_INSE_IfEEEESG_SI_PmS8_NS6_8equal_toIiEEEE10hipError_tPvRmT2_T3_mT4_T5_T6_T7_T8_P12ihipStream_tbENKUlT_T0_E_clISt17integral_constantIbLb0EES12_IbLb1EEEEDaSY_SZ_EUlSY_E_NS1_11comp_targetILNS1_3genE0ELNS1_11target_archE4294967295ELNS1_3gpuE0ELNS1_3repE0EEENS1_30default_config_static_selectorELNS0_4arch9wavefront6targetE0EEEvT1_
	.globl	_ZN7rocprim17ROCPRIM_400000_NS6detail17trampoline_kernelINS0_14default_configENS1_29reduce_by_key_config_selectorIifN6thrust23THRUST_200600_302600_NS4plusIfEEEEZZNS1_33reduce_by_key_impl_wrapped_configILNS1_25lookback_scan_determinismE0ES3_S9_NS6_6detail15normal_iteratorINS6_10device_ptrIiEEEENSD_INSE_IfEEEESG_SI_PmS8_NS6_8equal_toIiEEEE10hipError_tPvRmT2_T3_mT4_T5_T6_T7_T8_P12ihipStream_tbENKUlT_T0_E_clISt17integral_constantIbLb0EES12_IbLb1EEEEDaSY_SZ_EUlSY_E_NS1_11comp_targetILNS1_3genE0ELNS1_11target_archE4294967295ELNS1_3gpuE0ELNS1_3repE0EEENS1_30default_config_static_selectorELNS0_4arch9wavefront6targetE0EEEvT1_
	.p2align	8
	.type	_ZN7rocprim17ROCPRIM_400000_NS6detail17trampoline_kernelINS0_14default_configENS1_29reduce_by_key_config_selectorIifN6thrust23THRUST_200600_302600_NS4plusIfEEEEZZNS1_33reduce_by_key_impl_wrapped_configILNS1_25lookback_scan_determinismE0ES3_S9_NS6_6detail15normal_iteratorINS6_10device_ptrIiEEEENSD_INSE_IfEEEESG_SI_PmS8_NS6_8equal_toIiEEEE10hipError_tPvRmT2_T3_mT4_T5_T6_T7_T8_P12ihipStream_tbENKUlT_T0_E_clISt17integral_constantIbLb0EES12_IbLb1EEEEDaSY_SZ_EUlSY_E_NS1_11comp_targetILNS1_3genE0ELNS1_11target_archE4294967295ELNS1_3gpuE0ELNS1_3repE0EEENS1_30default_config_static_selectorELNS0_4arch9wavefront6targetE0EEEvT1_,@function
_ZN7rocprim17ROCPRIM_400000_NS6detail17trampoline_kernelINS0_14default_configENS1_29reduce_by_key_config_selectorIifN6thrust23THRUST_200600_302600_NS4plusIfEEEEZZNS1_33reduce_by_key_impl_wrapped_configILNS1_25lookback_scan_determinismE0ES3_S9_NS6_6detail15normal_iteratorINS6_10device_ptrIiEEEENSD_INSE_IfEEEESG_SI_PmS8_NS6_8equal_toIiEEEE10hipError_tPvRmT2_T3_mT4_T5_T6_T7_T8_P12ihipStream_tbENKUlT_T0_E_clISt17integral_constantIbLb0EES12_IbLb1EEEEDaSY_SZ_EUlSY_E_NS1_11comp_targetILNS1_3genE0ELNS1_11target_archE4294967295ELNS1_3gpuE0ELNS1_3repE0EEENS1_30default_config_static_selectorELNS0_4arch9wavefront6targetE0EEEvT1_: ; @_ZN7rocprim17ROCPRIM_400000_NS6detail17trampoline_kernelINS0_14default_configENS1_29reduce_by_key_config_selectorIifN6thrust23THRUST_200600_302600_NS4plusIfEEEEZZNS1_33reduce_by_key_impl_wrapped_configILNS1_25lookback_scan_determinismE0ES3_S9_NS6_6detail15normal_iteratorINS6_10device_ptrIiEEEENSD_INSE_IfEEEESG_SI_PmS8_NS6_8equal_toIiEEEE10hipError_tPvRmT2_T3_mT4_T5_T6_T7_T8_P12ihipStream_tbENKUlT_T0_E_clISt17integral_constantIbLb0EES12_IbLb1EEEEDaSY_SZ_EUlSY_E_NS1_11comp_targetILNS1_3genE0ELNS1_11target_archE4294967295ELNS1_3gpuE0ELNS1_3repE0EEENS1_30default_config_static_selectorELNS0_4arch9wavefront6targetE0EEEvT1_
; %bb.0:
	.section	.rodata,"a",@progbits
	.p2align	6, 0x0
	.amdhsa_kernel _ZN7rocprim17ROCPRIM_400000_NS6detail17trampoline_kernelINS0_14default_configENS1_29reduce_by_key_config_selectorIifN6thrust23THRUST_200600_302600_NS4plusIfEEEEZZNS1_33reduce_by_key_impl_wrapped_configILNS1_25lookback_scan_determinismE0ES3_S9_NS6_6detail15normal_iteratorINS6_10device_ptrIiEEEENSD_INSE_IfEEEESG_SI_PmS8_NS6_8equal_toIiEEEE10hipError_tPvRmT2_T3_mT4_T5_T6_T7_T8_P12ihipStream_tbENKUlT_T0_E_clISt17integral_constantIbLb0EES12_IbLb1EEEEDaSY_SZ_EUlSY_E_NS1_11comp_targetILNS1_3genE0ELNS1_11target_archE4294967295ELNS1_3gpuE0ELNS1_3repE0EEENS1_30default_config_static_selectorELNS0_4arch9wavefront6targetE0EEEvT1_
		.amdhsa_group_segment_fixed_size 0
		.amdhsa_private_segment_fixed_size 0
		.amdhsa_kernarg_size 120
		.amdhsa_user_sgpr_count 6
		.amdhsa_user_sgpr_private_segment_buffer 1
		.amdhsa_user_sgpr_dispatch_ptr 0
		.amdhsa_user_sgpr_queue_ptr 0
		.amdhsa_user_sgpr_kernarg_segment_ptr 1
		.amdhsa_user_sgpr_dispatch_id 0
		.amdhsa_user_sgpr_flat_scratch_init 0
		.amdhsa_user_sgpr_private_segment_size 0
		.amdhsa_wavefront_size32 1
		.amdhsa_uses_dynamic_stack 0
		.amdhsa_system_sgpr_private_segment_wavefront_offset 0
		.amdhsa_system_sgpr_workgroup_id_x 1
		.amdhsa_system_sgpr_workgroup_id_y 0
		.amdhsa_system_sgpr_workgroup_id_z 0
		.amdhsa_system_sgpr_workgroup_info 0
		.amdhsa_system_vgpr_workitem_id 0
		.amdhsa_next_free_vgpr 1
		.amdhsa_next_free_sgpr 1
		.amdhsa_reserve_vcc 0
		.amdhsa_reserve_flat_scratch 0
		.amdhsa_float_round_mode_32 0
		.amdhsa_float_round_mode_16_64 0
		.amdhsa_float_denorm_mode_32 3
		.amdhsa_float_denorm_mode_16_64 3
		.amdhsa_dx10_clamp 1
		.amdhsa_ieee_mode 1
		.amdhsa_fp16_overflow 0
		.amdhsa_workgroup_processor_mode 1
		.amdhsa_memory_ordered 1
		.amdhsa_forward_progress 1
		.amdhsa_shared_vgpr_count 0
		.amdhsa_exception_fp_ieee_invalid_op 0
		.amdhsa_exception_fp_denorm_src 0
		.amdhsa_exception_fp_ieee_div_zero 0
		.amdhsa_exception_fp_ieee_overflow 0
		.amdhsa_exception_fp_ieee_underflow 0
		.amdhsa_exception_fp_ieee_inexact 0
		.amdhsa_exception_int_div_zero 0
	.end_amdhsa_kernel
	.section	.text._ZN7rocprim17ROCPRIM_400000_NS6detail17trampoline_kernelINS0_14default_configENS1_29reduce_by_key_config_selectorIifN6thrust23THRUST_200600_302600_NS4plusIfEEEEZZNS1_33reduce_by_key_impl_wrapped_configILNS1_25lookback_scan_determinismE0ES3_S9_NS6_6detail15normal_iteratorINS6_10device_ptrIiEEEENSD_INSE_IfEEEESG_SI_PmS8_NS6_8equal_toIiEEEE10hipError_tPvRmT2_T3_mT4_T5_T6_T7_T8_P12ihipStream_tbENKUlT_T0_E_clISt17integral_constantIbLb0EES12_IbLb1EEEEDaSY_SZ_EUlSY_E_NS1_11comp_targetILNS1_3genE0ELNS1_11target_archE4294967295ELNS1_3gpuE0ELNS1_3repE0EEENS1_30default_config_static_selectorELNS0_4arch9wavefront6targetE0EEEvT1_,"axG",@progbits,_ZN7rocprim17ROCPRIM_400000_NS6detail17trampoline_kernelINS0_14default_configENS1_29reduce_by_key_config_selectorIifN6thrust23THRUST_200600_302600_NS4plusIfEEEEZZNS1_33reduce_by_key_impl_wrapped_configILNS1_25lookback_scan_determinismE0ES3_S9_NS6_6detail15normal_iteratorINS6_10device_ptrIiEEEENSD_INSE_IfEEEESG_SI_PmS8_NS6_8equal_toIiEEEE10hipError_tPvRmT2_T3_mT4_T5_T6_T7_T8_P12ihipStream_tbENKUlT_T0_E_clISt17integral_constantIbLb0EES12_IbLb1EEEEDaSY_SZ_EUlSY_E_NS1_11comp_targetILNS1_3genE0ELNS1_11target_archE4294967295ELNS1_3gpuE0ELNS1_3repE0EEENS1_30default_config_static_selectorELNS0_4arch9wavefront6targetE0EEEvT1_,comdat
.Lfunc_end96:
	.size	_ZN7rocprim17ROCPRIM_400000_NS6detail17trampoline_kernelINS0_14default_configENS1_29reduce_by_key_config_selectorIifN6thrust23THRUST_200600_302600_NS4plusIfEEEEZZNS1_33reduce_by_key_impl_wrapped_configILNS1_25lookback_scan_determinismE0ES3_S9_NS6_6detail15normal_iteratorINS6_10device_ptrIiEEEENSD_INSE_IfEEEESG_SI_PmS8_NS6_8equal_toIiEEEE10hipError_tPvRmT2_T3_mT4_T5_T6_T7_T8_P12ihipStream_tbENKUlT_T0_E_clISt17integral_constantIbLb0EES12_IbLb1EEEEDaSY_SZ_EUlSY_E_NS1_11comp_targetILNS1_3genE0ELNS1_11target_archE4294967295ELNS1_3gpuE0ELNS1_3repE0EEENS1_30default_config_static_selectorELNS0_4arch9wavefront6targetE0EEEvT1_, .Lfunc_end96-_ZN7rocprim17ROCPRIM_400000_NS6detail17trampoline_kernelINS0_14default_configENS1_29reduce_by_key_config_selectorIifN6thrust23THRUST_200600_302600_NS4plusIfEEEEZZNS1_33reduce_by_key_impl_wrapped_configILNS1_25lookback_scan_determinismE0ES3_S9_NS6_6detail15normal_iteratorINS6_10device_ptrIiEEEENSD_INSE_IfEEEESG_SI_PmS8_NS6_8equal_toIiEEEE10hipError_tPvRmT2_T3_mT4_T5_T6_T7_T8_P12ihipStream_tbENKUlT_T0_E_clISt17integral_constantIbLb0EES12_IbLb1EEEEDaSY_SZ_EUlSY_E_NS1_11comp_targetILNS1_3genE0ELNS1_11target_archE4294967295ELNS1_3gpuE0ELNS1_3repE0EEENS1_30default_config_static_selectorELNS0_4arch9wavefront6targetE0EEEvT1_
                                        ; -- End function
	.set _ZN7rocprim17ROCPRIM_400000_NS6detail17trampoline_kernelINS0_14default_configENS1_29reduce_by_key_config_selectorIifN6thrust23THRUST_200600_302600_NS4plusIfEEEEZZNS1_33reduce_by_key_impl_wrapped_configILNS1_25lookback_scan_determinismE0ES3_S9_NS6_6detail15normal_iteratorINS6_10device_ptrIiEEEENSD_INSE_IfEEEESG_SI_PmS8_NS6_8equal_toIiEEEE10hipError_tPvRmT2_T3_mT4_T5_T6_T7_T8_P12ihipStream_tbENKUlT_T0_E_clISt17integral_constantIbLb0EES12_IbLb1EEEEDaSY_SZ_EUlSY_E_NS1_11comp_targetILNS1_3genE0ELNS1_11target_archE4294967295ELNS1_3gpuE0ELNS1_3repE0EEENS1_30default_config_static_selectorELNS0_4arch9wavefront6targetE0EEEvT1_.num_vgpr, 0
	.set _ZN7rocprim17ROCPRIM_400000_NS6detail17trampoline_kernelINS0_14default_configENS1_29reduce_by_key_config_selectorIifN6thrust23THRUST_200600_302600_NS4plusIfEEEEZZNS1_33reduce_by_key_impl_wrapped_configILNS1_25lookback_scan_determinismE0ES3_S9_NS6_6detail15normal_iteratorINS6_10device_ptrIiEEEENSD_INSE_IfEEEESG_SI_PmS8_NS6_8equal_toIiEEEE10hipError_tPvRmT2_T3_mT4_T5_T6_T7_T8_P12ihipStream_tbENKUlT_T0_E_clISt17integral_constantIbLb0EES12_IbLb1EEEEDaSY_SZ_EUlSY_E_NS1_11comp_targetILNS1_3genE0ELNS1_11target_archE4294967295ELNS1_3gpuE0ELNS1_3repE0EEENS1_30default_config_static_selectorELNS0_4arch9wavefront6targetE0EEEvT1_.num_agpr, 0
	.set _ZN7rocprim17ROCPRIM_400000_NS6detail17trampoline_kernelINS0_14default_configENS1_29reduce_by_key_config_selectorIifN6thrust23THRUST_200600_302600_NS4plusIfEEEEZZNS1_33reduce_by_key_impl_wrapped_configILNS1_25lookback_scan_determinismE0ES3_S9_NS6_6detail15normal_iteratorINS6_10device_ptrIiEEEENSD_INSE_IfEEEESG_SI_PmS8_NS6_8equal_toIiEEEE10hipError_tPvRmT2_T3_mT4_T5_T6_T7_T8_P12ihipStream_tbENKUlT_T0_E_clISt17integral_constantIbLb0EES12_IbLb1EEEEDaSY_SZ_EUlSY_E_NS1_11comp_targetILNS1_3genE0ELNS1_11target_archE4294967295ELNS1_3gpuE0ELNS1_3repE0EEENS1_30default_config_static_selectorELNS0_4arch9wavefront6targetE0EEEvT1_.numbered_sgpr, 0
	.set _ZN7rocprim17ROCPRIM_400000_NS6detail17trampoline_kernelINS0_14default_configENS1_29reduce_by_key_config_selectorIifN6thrust23THRUST_200600_302600_NS4plusIfEEEEZZNS1_33reduce_by_key_impl_wrapped_configILNS1_25lookback_scan_determinismE0ES3_S9_NS6_6detail15normal_iteratorINS6_10device_ptrIiEEEENSD_INSE_IfEEEESG_SI_PmS8_NS6_8equal_toIiEEEE10hipError_tPvRmT2_T3_mT4_T5_T6_T7_T8_P12ihipStream_tbENKUlT_T0_E_clISt17integral_constantIbLb0EES12_IbLb1EEEEDaSY_SZ_EUlSY_E_NS1_11comp_targetILNS1_3genE0ELNS1_11target_archE4294967295ELNS1_3gpuE0ELNS1_3repE0EEENS1_30default_config_static_selectorELNS0_4arch9wavefront6targetE0EEEvT1_.num_named_barrier, 0
	.set _ZN7rocprim17ROCPRIM_400000_NS6detail17trampoline_kernelINS0_14default_configENS1_29reduce_by_key_config_selectorIifN6thrust23THRUST_200600_302600_NS4plusIfEEEEZZNS1_33reduce_by_key_impl_wrapped_configILNS1_25lookback_scan_determinismE0ES3_S9_NS6_6detail15normal_iteratorINS6_10device_ptrIiEEEENSD_INSE_IfEEEESG_SI_PmS8_NS6_8equal_toIiEEEE10hipError_tPvRmT2_T3_mT4_T5_T6_T7_T8_P12ihipStream_tbENKUlT_T0_E_clISt17integral_constantIbLb0EES12_IbLb1EEEEDaSY_SZ_EUlSY_E_NS1_11comp_targetILNS1_3genE0ELNS1_11target_archE4294967295ELNS1_3gpuE0ELNS1_3repE0EEENS1_30default_config_static_selectorELNS0_4arch9wavefront6targetE0EEEvT1_.private_seg_size, 0
	.set _ZN7rocprim17ROCPRIM_400000_NS6detail17trampoline_kernelINS0_14default_configENS1_29reduce_by_key_config_selectorIifN6thrust23THRUST_200600_302600_NS4plusIfEEEEZZNS1_33reduce_by_key_impl_wrapped_configILNS1_25lookback_scan_determinismE0ES3_S9_NS6_6detail15normal_iteratorINS6_10device_ptrIiEEEENSD_INSE_IfEEEESG_SI_PmS8_NS6_8equal_toIiEEEE10hipError_tPvRmT2_T3_mT4_T5_T6_T7_T8_P12ihipStream_tbENKUlT_T0_E_clISt17integral_constantIbLb0EES12_IbLb1EEEEDaSY_SZ_EUlSY_E_NS1_11comp_targetILNS1_3genE0ELNS1_11target_archE4294967295ELNS1_3gpuE0ELNS1_3repE0EEENS1_30default_config_static_selectorELNS0_4arch9wavefront6targetE0EEEvT1_.uses_vcc, 0
	.set _ZN7rocprim17ROCPRIM_400000_NS6detail17trampoline_kernelINS0_14default_configENS1_29reduce_by_key_config_selectorIifN6thrust23THRUST_200600_302600_NS4plusIfEEEEZZNS1_33reduce_by_key_impl_wrapped_configILNS1_25lookback_scan_determinismE0ES3_S9_NS6_6detail15normal_iteratorINS6_10device_ptrIiEEEENSD_INSE_IfEEEESG_SI_PmS8_NS6_8equal_toIiEEEE10hipError_tPvRmT2_T3_mT4_T5_T6_T7_T8_P12ihipStream_tbENKUlT_T0_E_clISt17integral_constantIbLb0EES12_IbLb1EEEEDaSY_SZ_EUlSY_E_NS1_11comp_targetILNS1_3genE0ELNS1_11target_archE4294967295ELNS1_3gpuE0ELNS1_3repE0EEENS1_30default_config_static_selectorELNS0_4arch9wavefront6targetE0EEEvT1_.uses_flat_scratch, 0
	.set _ZN7rocprim17ROCPRIM_400000_NS6detail17trampoline_kernelINS0_14default_configENS1_29reduce_by_key_config_selectorIifN6thrust23THRUST_200600_302600_NS4plusIfEEEEZZNS1_33reduce_by_key_impl_wrapped_configILNS1_25lookback_scan_determinismE0ES3_S9_NS6_6detail15normal_iteratorINS6_10device_ptrIiEEEENSD_INSE_IfEEEESG_SI_PmS8_NS6_8equal_toIiEEEE10hipError_tPvRmT2_T3_mT4_T5_T6_T7_T8_P12ihipStream_tbENKUlT_T0_E_clISt17integral_constantIbLb0EES12_IbLb1EEEEDaSY_SZ_EUlSY_E_NS1_11comp_targetILNS1_3genE0ELNS1_11target_archE4294967295ELNS1_3gpuE0ELNS1_3repE0EEENS1_30default_config_static_selectorELNS0_4arch9wavefront6targetE0EEEvT1_.has_dyn_sized_stack, 0
	.set _ZN7rocprim17ROCPRIM_400000_NS6detail17trampoline_kernelINS0_14default_configENS1_29reduce_by_key_config_selectorIifN6thrust23THRUST_200600_302600_NS4plusIfEEEEZZNS1_33reduce_by_key_impl_wrapped_configILNS1_25lookback_scan_determinismE0ES3_S9_NS6_6detail15normal_iteratorINS6_10device_ptrIiEEEENSD_INSE_IfEEEESG_SI_PmS8_NS6_8equal_toIiEEEE10hipError_tPvRmT2_T3_mT4_T5_T6_T7_T8_P12ihipStream_tbENKUlT_T0_E_clISt17integral_constantIbLb0EES12_IbLb1EEEEDaSY_SZ_EUlSY_E_NS1_11comp_targetILNS1_3genE0ELNS1_11target_archE4294967295ELNS1_3gpuE0ELNS1_3repE0EEENS1_30default_config_static_selectorELNS0_4arch9wavefront6targetE0EEEvT1_.has_recursion, 0
	.set _ZN7rocprim17ROCPRIM_400000_NS6detail17trampoline_kernelINS0_14default_configENS1_29reduce_by_key_config_selectorIifN6thrust23THRUST_200600_302600_NS4plusIfEEEEZZNS1_33reduce_by_key_impl_wrapped_configILNS1_25lookback_scan_determinismE0ES3_S9_NS6_6detail15normal_iteratorINS6_10device_ptrIiEEEENSD_INSE_IfEEEESG_SI_PmS8_NS6_8equal_toIiEEEE10hipError_tPvRmT2_T3_mT4_T5_T6_T7_T8_P12ihipStream_tbENKUlT_T0_E_clISt17integral_constantIbLb0EES12_IbLb1EEEEDaSY_SZ_EUlSY_E_NS1_11comp_targetILNS1_3genE0ELNS1_11target_archE4294967295ELNS1_3gpuE0ELNS1_3repE0EEENS1_30default_config_static_selectorELNS0_4arch9wavefront6targetE0EEEvT1_.has_indirect_call, 0
	.section	.AMDGPU.csdata,"",@progbits
; Kernel info:
; codeLenInByte = 0
; TotalNumSgprs: 0
; NumVgprs: 0
; ScratchSize: 0
; MemoryBound: 0
; FloatMode: 240
; IeeeMode: 1
; LDSByteSize: 0 bytes/workgroup (compile time only)
; SGPRBlocks: 0
; VGPRBlocks: 0
; NumSGPRsForWavesPerEU: 1
; NumVGPRsForWavesPerEU: 1
; Occupancy: 16
; WaveLimiterHint : 0
; COMPUTE_PGM_RSRC2:SCRATCH_EN: 0
; COMPUTE_PGM_RSRC2:USER_SGPR: 6
; COMPUTE_PGM_RSRC2:TRAP_HANDLER: 0
; COMPUTE_PGM_RSRC2:TGID_X_EN: 1
; COMPUTE_PGM_RSRC2:TGID_Y_EN: 0
; COMPUTE_PGM_RSRC2:TGID_Z_EN: 0
; COMPUTE_PGM_RSRC2:TIDIG_COMP_CNT: 0
	.section	.text._ZN7rocprim17ROCPRIM_400000_NS6detail17trampoline_kernelINS0_14default_configENS1_29reduce_by_key_config_selectorIifN6thrust23THRUST_200600_302600_NS4plusIfEEEEZZNS1_33reduce_by_key_impl_wrapped_configILNS1_25lookback_scan_determinismE0ES3_S9_NS6_6detail15normal_iteratorINS6_10device_ptrIiEEEENSD_INSE_IfEEEESG_SI_PmS8_NS6_8equal_toIiEEEE10hipError_tPvRmT2_T3_mT4_T5_T6_T7_T8_P12ihipStream_tbENKUlT_T0_E_clISt17integral_constantIbLb0EES12_IbLb1EEEEDaSY_SZ_EUlSY_E_NS1_11comp_targetILNS1_3genE5ELNS1_11target_archE942ELNS1_3gpuE9ELNS1_3repE0EEENS1_30default_config_static_selectorELNS0_4arch9wavefront6targetE0EEEvT1_,"axG",@progbits,_ZN7rocprim17ROCPRIM_400000_NS6detail17trampoline_kernelINS0_14default_configENS1_29reduce_by_key_config_selectorIifN6thrust23THRUST_200600_302600_NS4plusIfEEEEZZNS1_33reduce_by_key_impl_wrapped_configILNS1_25lookback_scan_determinismE0ES3_S9_NS6_6detail15normal_iteratorINS6_10device_ptrIiEEEENSD_INSE_IfEEEESG_SI_PmS8_NS6_8equal_toIiEEEE10hipError_tPvRmT2_T3_mT4_T5_T6_T7_T8_P12ihipStream_tbENKUlT_T0_E_clISt17integral_constantIbLb0EES12_IbLb1EEEEDaSY_SZ_EUlSY_E_NS1_11comp_targetILNS1_3genE5ELNS1_11target_archE942ELNS1_3gpuE9ELNS1_3repE0EEENS1_30default_config_static_selectorELNS0_4arch9wavefront6targetE0EEEvT1_,comdat
	.protected	_ZN7rocprim17ROCPRIM_400000_NS6detail17trampoline_kernelINS0_14default_configENS1_29reduce_by_key_config_selectorIifN6thrust23THRUST_200600_302600_NS4plusIfEEEEZZNS1_33reduce_by_key_impl_wrapped_configILNS1_25lookback_scan_determinismE0ES3_S9_NS6_6detail15normal_iteratorINS6_10device_ptrIiEEEENSD_INSE_IfEEEESG_SI_PmS8_NS6_8equal_toIiEEEE10hipError_tPvRmT2_T3_mT4_T5_T6_T7_T8_P12ihipStream_tbENKUlT_T0_E_clISt17integral_constantIbLb0EES12_IbLb1EEEEDaSY_SZ_EUlSY_E_NS1_11comp_targetILNS1_3genE5ELNS1_11target_archE942ELNS1_3gpuE9ELNS1_3repE0EEENS1_30default_config_static_selectorELNS0_4arch9wavefront6targetE0EEEvT1_ ; -- Begin function _ZN7rocprim17ROCPRIM_400000_NS6detail17trampoline_kernelINS0_14default_configENS1_29reduce_by_key_config_selectorIifN6thrust23THRUST_200600_302600_NS4plusIfEEEEZZNS1_33reduce_by_key_impl_wrapped_configILNS1_25lookback_scan_determinismE0ES3_S9_NS6_6detail15normal_iteratorINS6_10device_ptrIiEEEENSD_INSE_IfEEEESG_SI_PmS8_NS6_8equal_toIiEEEE10hipError_tPvRmT2_T3_mT4_T5_T6_T7_T8_P12ihipStream_tbENKUlT_T0_E_clISt17integral_constantIbLb0EES12_IbLb1EEEEDaSY_SZ_EUlSY_E_NS1_11comp_targetILNS1_3genE5ELNS1_11target_archE942ELNS1_3gpuE9ELNS1_3repE0EEENS1_30default_config_static_selectorELNS0_4arch9wavefront6targetE0EEEvT1_
	.globl	_ZN7rocprim17ROCPRIM_400000_NS6detail17trampoline_kernelINS0_14default_configENS1_29reduce_by_key_config_selectorIifN6thrust23THRUST_200600_302600_NS4plusIfEEEEZZNS1_33reduce_by_key_impl_wrapped_configILNS1_25lookback_scan_determinismE0ES3_S9_NS6_6detail15normal_iteratorINS6_10device_ptrIiEEEENSD_INSE_IfEEEESG_SI_PmS8_NS6_8equal_toIiEEEE10hipError_tPvRmT2_T3_mT4_T5_T6_T7_T8_P12ihipStream_tbENKUlT_T0_E_clISt17integral_constantIbLb0EES12_IbLb1EEEEDaSY_SZ_EUlSY_E_NS1_11comp_targetILNS1_3genE5ELNS1_11target_archE942ELNS1_3gpuE9ELNS1_3repE0EEENS1_30default_config_static_selectorELNS0_4arch9wavefront6targetE0EEEvT1_
	.p2align	8
	.type	_ZN7rocprim17ROCPRIM_400000_NS6detail17trampoline_kernelINS0_14default_configENS1_29reduce_by_key_config_selectorIifN6thrust23THRUST_200600_302600_NS4plusIfEEEEZZNS1_33reduce_by_key_impl_wrapped_configILNS1_25lookback_scan_determinismE0ES3_S9_NS6_6detail15normal_iteratorINS6_10device_ptrIiEEEENSD_INSE_IfEEEESG_SI_PmS8_NS6_8equal_toIiEEEE10hipError_tPvRmT2_T3_mT4_T5_T6_T7_T8_P12ihipStream_tbENKUlT_T0_E_clISt17integral_constantIbLb0EES12_IbLb1EEEEDaSY_SZ_EUlSY_E_NS1_11comp_targetILNS1_3genE5ELNS1_11target_archE942ELNS1_3gpuE9ELNS1_3repE0EEENS1_30default_config_static_selectorELNS0_4arch9wavefront6targetE0EEEvT1_,@function
_ZN7rocprim17ROCPRIM_400000_NS6detail17trampoline_kernelINS0_14default_configENS1_29reduce_by_key_config_selectorIifN6thrust23THRUST_200600_302600_NS4plusIfEEEEZZNS1_33reduce_by_key_impl_wrapped_configILNS1_25lookback_scan_determinismE0ES3_S9_NS6_6detail15normal_iteratorINS6_10device_ptrIiEEEENSD_INSE_IfEEEESG_SI_PmS8_NS6_8equal_toIiEEEE10hipError_tPvRmT2_T3_mT4_T5_T6_T7_T8_P12ihipStream_tbENKUlT_T0_E_clISt17integral_constantIbLb0EES12_IbLb1EEEEDaSY_SZ_EUlSY_E_NS1_11comp_targetILNS1_3genE5ELNS1_11target_archE942ELNS1_3gpuE9ELNS1_3repE0EEENS1_30default_config_static_selectorELNS0_4arch9wavefront6targetE0EEEvT1_: ; @_ZN7rocprim17ROCPRIM_400000_NS6detail17trampoline_kernelINS0_14default_configENS1_29reduce_by_key_config_selectorIifN6thrust23THRUST_200600_302600_NS4plusIfEEEEZZNS1_33reduce_by_key_impl_wrapped_configILNS1_25lookback_scan_determinismE0ES3_S9_NS6_6detail15normal_iteratorINS6_10device_ptrIiEEEENSD_INSE_IfEEEESG_SI_PmS8_NS6_8equal_toIiEEEE10hipError_tPvRmT2_T3_mT4_T5_T6_T7_T8_P12ihipStream_tbENKUlT_T0_E_clISt17integral_constantIbLb0EES12_IbLb1EEEEDaSY_SZ_EUlSY_E_NS1_11comp_targetILNS1_3genE5ELNS1_11target_archE942ELNS1_3gpuE9ELNS1_3repE0EEENS1_30default_config_static_selectorELNS0_4arch9wavefront6targetE0EEEvT1_
; %bb.0:
	.section	.rodata,"a",@progbits
	.p2align	6, 0x0
	.amdhsa_kernel _ZN7rocprim17ROCPRIM_400000_NS6detail17trampoline_kernelINS0_14default_configENS1_29reduce_by_key_config_selectorIifN6thrust23THRUST_200600_302600_NS4plusIfEEEEZZNS1_33reduce_by_key_impl_wrapped_configILNS1_25lookback_scan_determinismE0ES3_S9_NS6_6detail15normal_iteratorINS6_10device_ptrIiEEEENSD_INSE_IfEEEESG_SI_PmS8_NS6_8equal_toIiEEEE10hipError_tPvRmT2_T3_mT4_T5_T6_T7_T8_P12ihipStream_tbENKUlT_T0_E_clISt17integral_constantIbLb0EES12_IbLb1EEEEDaSY_SZ_EUlSY_E_NS1_11comp_targetILNS1_3genE5ELNS1_11target_archE942ELNS1_3gpuE9ELNS1_3repE0EEENS1_30default_config_static_selectorELNS0_4arch9wavefront6targetE0EEEvT1_
		.amdhsa_group_segment_fixed_size 0
		.amdhsa_private_segment_fixed_size 0
		.amdhsa_kernarg_size 120
		.amdhsa_user_sgpr_count 6
		.amdhsa_user_sgpr_private_segment_buffer 1
		.amdhsa_user_sgpr_dispatch_ptr 0
		.amdhsa_user_sgpr_queue_ptr 0
		.amdhsa_user_sgpr_kernarg_segment_ptr 1
		.amdhsa_user_sgpr_dispatch_id 0
		.amdhsa_user_sgpr_flat_scratch_init 0
		.amdhsa_user_sgpr_private_segment_size 0
		.amdhsa_wavefront_size32 1
		.amdhsa_uses_dynamic_stack 0
		.amdhsa_system_sgpr_private_segment_wavefront_offset 0
		.amdhsa_system_sgpr_workgroup_id_x 1
		.amdhsa_system_sgpr_workgroup_id_y 0
		.amdhsa_system_sgpr_workgroup_id_z 0
		.amdhsa_system_sgpr_workgroup_info 0
		.amdhsa_system_vgpr_workitem_id 0
		.amdhsa_next_free_vgpr 1
		.amdhsa_next_free_sgpr 1
		.amdhsa_reserve_vcc 0
		.amdhsa_reserve_flat_scratch 0
		.amdhsa_float_round_mode_32 0
		.amdhsa_float_round_mode_16_64 0
		.amdhsa_float_denorm_mode_32 3
		.amdhsa_float_denorm_mode_16_64 3
		.amdhsa_dx10_clamp 1
		.amdhsa_ieee_mode 1
		.amdhsa_fp16_overflow 0
		.amdhsa_workgroup_processor_mode 1
		.amdhsa_memory_ordered 1
		.amdhsa_forward_progress 1
		.amdhsa_shared_vgpr_count 0
		.amdhsa_exception_fp_ieee_invalid_op 0
		.amdhsa_exception_fp_denorm_src 0
		.amdhsa_exception_fp_ieee_div_zero 0
		.amdhsa_exception_fp_ieee_overflow 0
		.amdhsa_exception_fp_ieee_underflow 0
		.amdhsa_exception_fp_ieee_inexact 0
		.amdhsa_exception_int_div_zero 0
	.end_amdhsa_kernel
	.section	.text._ZN7rocprim17ROCPRIM_400000_NS6detail17trampoline_kernelINS0_14default_configENS1_29reduce_by_key_config_selectorIifN6thrust23THRUST_200600_302600_NS4plusIfEEEEZZNS1_33reduce_by_key_impl_wrapped_configILNS1_25lookback_scan_determinismE0ES3_S9_NS6_6detail15normal_iteratorINS6_10device_ptrIiEEEENSD_INSE_IfEEEESG_SI_PmS8_NS6_8equal_toIiEEEE10hipError_tPvRmT2_T3_mT4_T5_T6_T7_T8_P12ihipStream_tbENKUlT_T0_E_clISt17integral_constantIbLb0EES12_IbLb1EEEEDaSY_SZ_EUlSY_E_NS1_11comp_targetILNS1_3genE5ELNS1_11target_archE942ELNS1_3gpuE9ELNS1_3repE0EEENS1_30default_config_static_selectorELNS0_4arch9wavefront6targetE0EEEvT1_,"axG",@progbits,_ZN7rocprim17ROCPRIM_400000_NS6detail17trampoline_kernelINS0_14default_configENS1_29reduce_by_key_config_selectorIifN6thrust23THRUST_200600_302600_NS4plusIfEEEEZZNS1_33reduce_by_key_impl_wrapped_configILNS1_25lookback_scan_determinismE0ES3_S9_NS6_6detail15normal_iteratorINS6_10device_ptrIiEEEENSD_INSE_IfEEEESG_SI_PmS8_NS6_8equal_toIiEEEE10hipError_tPvRmT2_T3_mT4_T5_T6_T7_T8_P12ihipStream_tbENKUlT_T0_E_clISt17integral_constantIbLb0EES12_IbLb1EEEEDaSY_SZ_EUlSY_E_NS1_11comp_targetILNS1_3genE5ELNS1_11target_archE942ELNS1_3gpuE9ELNS1_3repE0EEENS1_30default_config_static_selectorELNS0_4arch9wavefront6targetE0EEEvT1_,comdat
.Lfunc_end97:
	.size	_ZN7rocprim17ROCPRIM_400000_NS6detail17trampoline_kernelINS0_14default_configENS1_29reduce_by_key_config_selectorIifN6thrust23THRUST_200600_302600_NS4plusIfEEEEZZNS1_33reduce_by_key_impl_wrapped_configILNS1_25lookback_scan_determinismE0ES3_S9_NS6_6detail15normal_iteratorINS6_10device_ptrIiEEEENSD_INSE_IfEEEESG_SI_PmS8_NS6_8equal_toIiEEEE10hipError_tPvRmT2_T3_mT4_T5_T6_T7_T8_P12ihipStream_tbENKUlT_T0_E_clISt17integral_constantIbLb0EES12_IbLb1EEEEDaSY_SZ_EUlSY_E_NS1_11comp_targetILNS1_3genE5ELNS1_11target_archE942ELNS1_3gpuE9ELNS1_3repE0EEENS1_30default_config_static_selectorELNS0_4arch9wavefront6targetE0EEEvT1_, .Lfunc_end97-_ZN7rocprim17ROCPRIM_400000_NS6detail17trampoline_kernelINS0_14default_configENS1_29reduce_by_key_config_selectorIifN6thrust23THRUST_200600_302600_NS4plusIfEEEEZZNS1_33reduce_by_key_impl_wrapped_configILNS1_25lookback_scan_determinismE0ES3_S9_NS6_6detail15normal_iteratorINS6_10device_ptrIiEEEENSD_INSE_IfEEEESG_SI_PmS8_NS6_8equal_toIiEEEE10hipError_tPvRmT2_T3_mT4_T5_T6_T7_T8_P12ihipStream_tbENKUlT_T0_E_clISt17integral_constantIbLb0EES12_IbLb1EEEEDaSY_SZ_EUlSY_E_NS1_11comp_targetILNS1_3genE5ELNS1_11target_archE942ELNS1_3gpuE9ELNS1_3repE0EEENS1_30default_config_static_selectorELNS0_4arch9wavefront6targetE0EEEvT1_
                                        ; -- End function
	.set _ZN7rocprim17ROCPRIM_400000_NS6detail17trampoline_kernelINS0_14default_configENS1_29reduce_by_key_config_selectorIifN6thrust23THRUST_200600_302600_NS4plusIfEEEEZZNS1_33reduce_by_key_impl_wrapped_configILNS1_25lookback_scan_determinismE0ES3_S9_NS6_6detail15normal_iteratorINS6_10device_ptrIiEEEENSD_INSE_IfEEEESG_SI_PmS8_NS6_8equal_toIiEEEE10hipError_tPvRmT2_T3_mT4_T5_T6_T7_T8_P12ihipStream_tbENKUlT_T0_E_clISt17integral_constantIbLb0EES12_IbLb1EEEEDaSY_SZ_EUlSY_E_NS1_11comp_targetILNS1_3genE5ELNS1_11target_archE942ELNS1_3gpuE9ELNS1_3repE0EEENS1_30default_config_static_selectorELNS0_4arch9wavefront6targetE0EEEvT1_.num_vgpr, 0
	.set _ZN7rocprim17ROCPRIM_400000_NS6detail17trampoline_kernelINS0_14default_configENS1_29reduce_by_key_config_selectorIifN6thrust23THRUST_200600_302600_NS4plusIfEEEEZZNS1_33reduce_by_key_impl_wrapped_configILNS1_25lookback_scan_determinismE0ES3_S9_NS6_6detail15normal_iteratorINS6_10device_ptrIiEEEENSD_INSE_IfEEEESG_SI_PmS8_NS6_8equal_toIiEEEE10hipError_tPvRmT2_T3_mT4_T5_T6_T7_T8_P12ihipStream_tbENKUlT_T0_E_clISt17integral_constantIbLb0EES12_IbLb1EEEEDaSY_SZ_EUlSY_E_NS1_11comp_targetILNS1_3genE5ELNS1_11target_archE942ELNS1_3gpuE9ELNS1_3repE0EEENS1_30default_config_static_selectorELNS0_4arch9wavefront6targetE0EEEvT1_.num_agpr, 0
	.set _ZN7rocprim17ROCPRIM_400000_NS6detail17trampoline_kernelINS0_14default_configENS1_29reduce_by_key_config_selectorIifN6thrust23THRUST_200600_302600_NS4plusIfEEEEZZNS1_33reduce_by_key_impl_wrapped_configILNS1_25lookback_scan_determinismE0ES3_S9_NS6_6detail15normal_iteratorINS6_10device_ptrIiEEEENSD_INSE_IfEEEESG_SI_PmS8_NS6_8equal_toIiEEEE10hipError_tPvRmT2_T3_mT4_T5_T6_T7_T8_P12ihipStream_tbENKUlT_T0_E_clISt17integral_constantIbLb0EES12_IbLb1EEEEDaSY_SZ_EUlSY_E_NS1_11comp_targetILNS1_3genE5ELNS1_11target_archE942ELNS1_3gpuE9ELNS1_3repE0EEENS1_30default_config_static_selectorELNS0_4arch9wavefront6targetE0EEEvT1_.numbered_sgpr, 0
	.set _ZN7rocprim17ROCPRIM_400000_NS6detail17trampoline_kernelINS0_14default_configENS1_29reduce_by_key_config_selectorIifN6thrust23THRUST_200600_302600_NS4plusIfEEEEZZNS1_33reduce_by_key_impl_wrapped_configILNS1_25lookback_scan_determinismE0ES3_S9_NS6_6detail15normal_iteratorINS6_10device_ptrIiEEEENSD_INSE_IfEEEESG_SI_PmS8_NS6_8equal_toIiEEEE10hipError_tPvRmT2_T3_mT4_T5_T6_T7_T8_P12ihipStream_tbENKUlT_T0_E_clISt17integral_constantIbLb0EES12_IbLb1EEEEDaSY_SZ_EUlSY_E_NS1_11comp_targetILNS1_3genE5ELNS1_11target_archE942ELNS1_3gpuE9ELNS1_3repE0EEENS1_30default_config_static_selectorELNS0_4arch9wavefront6targetE0EEEvT1_.num_named_barrier, 0
	.set _ZN7rocprim17ROCPRIM_400000_NS6detail17trampoline_kernelINS0_14default_configENS1_29reduce_by_key_config_selectorIifN6thrust23THRUST_200600_302600_NS4plusIfEEEEZZNS1_33reduce_by_key_impl_wrapped_configILNS1_25lookback_scan_determinismE0ES3_S9_NS6_6detail15normal_iteratorINS6_10device_ptrIiEEEENSD_INSE_IfEEEESG_SI_PmS8_NS6_8equal_toIiEEEE10hipError_tPvRmT2_T3_mT4_T5_T6_T7_T8_P12ihipStream_tbENKUlT_T0_E_clISt17integral_constantIbLb0EES12_IbLb1EEEEDaSY_SZ_EUlSY_E_NS1_11comp_targetILNS1_3genE5ELNS1_11target_archE942ELNS1_3gpuE9ELNS1_3repE0EEENS1_30default_config_static_selectorELNS0_4arch9wavefront6targetE0EEEvT1_.private_seg_size, 0
	.set _ZN7rocprim17ROCPRIM_400000_NS6detail17trampoline_kernelINS0_14default_configENS1_29reduce_by_key_config_selectorIifN6thrust23THRUST_200600_302600_NS4plusIfEEEEZZNS1_33reduce_by_key_impl_wrapped_configILNS1_25lookback_scan_determinismE0ES3_S9_NS6_6detail15normal_iteratorINS6_10device_ptrIiEEEENSD_INSE_IfEEEESG_SI_PmS8_NS6_8equal_toIiEEEE10hipError_tPvRmT2_T3_mT4_T5_T6_T7_T8_P12ihipStream_tbENKUlT_T0_E_clISt17integral_constantIbLb0EES12_IbLb1EEEEDaSY_SZ_EUlSY_E_NS1_11comp_targetILNS1_3genE5ELNS1_11target_archE942ELNS1_3gpuE9ELNS1_3repE0EEENS1_30default_config_static_selectorELNS0_4arch9wavefront6targetE0EEEvT1_.uses_vcc, 0
	.set _ZN7rocprim17ROCPRIM_400000_NS6detail17trampoline_kernelINS0_14default_configENS1_29reduce_by_key_config_selectorIifN6thrust23THRUST_200600_302600_NS4plusIfEEEEZZNS1_33reduce_by_key_impl_wrapped_configILNS1_25lookback_scan_determinismE0ES3_S9_NS6_6detail15normal_iteratorINS6_10device_ptrIiEEEENSD_INSE_IfEEEESG_SI_PmS8_NS6_8equal_toIiEEEE10hipError_tPvRmT2_T3_mT4_T5_T6_T7_T8_P12ihipStream_tbENKUlT_T0_E_clISt17integral_constantIbLb0EES12_IbLb1EEEEDaSY_SZ_EUlSY_E_NS1_11comp_targetILNS1_3genE5ELNS1_11target_archE942ELNS1_3gpuE9ELNS1_3repE0EEENS1_30default_config_static_selectorELNS0_4arch9wavefront6targetE0EEEvT1_.uses_flat_scratch, 0
	.set _ZN7rocprim17ROCPRIM_400000_NS6detail17trampoline_kernelINS0_14default_configENS1_29reduce_by_key_config_selectorIifN6thrust23THRUST_200600_302600_NS4plusIfEEEEZZNS1_33reduce_by_key_impl_wrapped_configILNS1_25lookback_scan_determinismE0ES3_S9_NS6_6detail15normal_iteratorINS6_10device_ptrIiEEEENSD_INSE_IfEEEESG_SI_PmS8_NS6_8equal_toIiEEEE10hipError_tPvRmT2_T3_mT4_T5_T6_T7_T8_P12ihipStream_tbENKUlT_T0_E_clISt17integral_constantIbLb0EES12_IbLb1EEEEDaSY_SZ_EUlSY_E_NS1_11comp_targetILNS1_3genE5ELNS1_11target_archE942ELNS1_3gpuE9ELNS1_3repE0EEENS1_30default_config_static_selectorELNS0_4arch9wavefront6targetE0EEEvT1_.has_dyn_sized_stack, 0
	.set _ZN7rocprim17ROCPRIM_400000_NS6detail17trampoline_kernelINS0_14default_configENS1_29reduce_by_key_config_selectorIifN6thrust23THRUST_200600_302600_NS4plusIfEEEEZZNS1_33reduce_by_key_impl_wrapped_configILNS1_25lookback_scan_determinismE0ES3_S9_NS6_6detail15normal_iteratorINS6_10device_ptrIiEEEENSD_INSE_IfEEEESG_SI_PmS8_NS6_8equal_toIiEEEE10hipError_tPvRmT2_T3_mT4_T5_T6_T7_T8_P12ihipStream_tbENKUlT_T0_E_clISt17integral_constantIbLb0EES12_IbLb1EEEEDaSY_SZ_EUlSY_E_NS1_11comp_targetILNS1_3genE5ELNS1_11target_archE942ELNS1_3gpuE9ELNS1_3repE0EEENS1_30default_config_static_selectorELNS0_4arch9wavefront6targetE0EEEvT1_.has_recursion, 0
	.set _ZN7rocprim17ROCPRIM_400000_NS6detail17trampoline_kernelINS0_14default_configENS1_29reduce_by_key_config_selectorIifN6thrust23THRUST_200600_302600_NS4plusIfEEEEZZNS1_33reduce_by_key_impl_wrapped_configILNS1_25lookback_scan_determinismE0ES3_S9_NS6_6detail15normal_iteratorINS6_10device_ptrIiEEEENSD_INSE_IfEEEESG_SI_PmS8_NS6_8equal_toIiEEEE10hipError_tPvRmT2_T3_mT4_T5_T6_T7_T8_P12ihipStream_tbENKUlT_T0_E_clISt17integral_constantIbLb0EES12_IbLb1EEEEDaSY_SZ_EUlSY_E_NS1_11comp_targetILNS1_3genE5ELNS1_11target_archE942ELNS1_3gpuE9ELNS1_3repE0EEENS1_30default_config_static_selectorELNS0_4arch9wavefront6targetE0EEEvT1_.has_indirect_call, 0
	.section	.AMDGPU.csdata,"",@progbits
; Kernel info:
; codeLenInByte = 0
; TotalNumSgprs: 0
; NumVgprs: 0
; ScratchSize: 0
; MemoryBound: 0
; FloatMode: 240
; IeeeMode: 1
; LDSByteSize: 0 bytes/workgroup (compile time only)
; SGPRBlocks: 0
; VGPRBlocks: 0
; NumSGPRsForWavesPerEU: 1
; NumVGPRsForWavesPerEU: 1
; Occupancy: 16
; WaveLimiterHint : 0
; COMPUTE_PGM_RSRC2:SCRATCH_EN: 0
; COMPUTE_PGM_RSRC2:USER_SGPR: 6
; COMPUTE_PGM_RSRC2:TRAP_HANDLER: 0
; COMPUTE_PGM_RSRC2:TGID_X_EN: 1
; COMPUTE_PGM_RSRC2:TGID_Y_EN: 0
; COMPUTE_PGM_RSRC2:TGID_Z_EN: 0
; COMPUTE_PGM_RSRC2:TIDIG_COMP_CNT: 0
	.section	.text._ZN7rocprim17ROCPRIM_400000_NS6detail17trampoline_kernelINS0_14default_configENS1_29reduce_by_key_config_selectorIifN6thrust23THRUST_200600_302600_NS4plusIfEEEEZZNS1_33reduce_by_key_impl_wrapped_configILNS1_25lookback_scan_determinismE0ES3_S9_NS6_6detail15normal_iteratorINS6_10device_ptrIiEEEENSD_INSE_IfEEEESG_SI_PmS8_NS6_8equal_toIiEEEE10hipError_tPvRmT2_T3_mT4_T5_T6_T7_T8_P12ihipStream_tbENKUlT_T0_E_clISt17integral_constantIbLb0EES12_IbLb1EEEEDaSY_SZ_EUlSY_E_NS1_11comp_targetILNS1_3genE4ELNS1_11target_archE910ELNS1_3gpuE8ELNS1_3repE0EEENS1_30default_config_static_selectorELNS0_4arch9wavefront6targetE0EEEvT1_,"axG",@progbits,_ZN7rocprim17ROCPRIM_400000_NS6detail17trampoline_kernelINS0_14default_configENS1_29reduce_by_key_config_selectorIifN6thrust23THRUST_200600_302600_NS4plusIfEEEEZZNS1_33reduce_by_key_impl_wrapped_configILNS1_25lookback_scan_determinismE0ES3_S9_NS6_6detail15normal_iteratorINS6_10device_ptrIiEEEENSD_INSE_IfEEEESG_SI_PmS8_NS6_8equal_toIiEEEE10hipError_tPvRmT2_T3_mT4_T5_T6_T7_T8_P12ihipStream_tbENKUlT_T0_E_clISt17integral_constantIbLb0EES12_IbLb1EEEEDaSY_SZ_EUlSY_E_NS1_11comp_targetILNS1_3genE4ELNS1_11target_archE910ELNS1_3gpuE8ELNS1_3repE0EEENS1_30default_config_static_selectorELNS0_4arch9wavefront6targetE0EEEvT1_,comdat
	.protected	_ZN7rocprim17ROCPRIM_400000_NS6detail17trampoline_kernelINS0_14default_configENS1_29reduce_by_key_config_selectorIifN6thrust23THRUST_200600_302600_NS4plusIfEEEEZZNS1_33reduce_by_key_impl_wrapped_configILNS1_25lookback_scan_determinismE0ES3_S9_NS6_6detail15normal_iteratorINS6_10device_ptrIiEEEENSD_INSE_IfEEEESG_SI_PmS8_NS6_8equal_toIiEEEE10hipError_tPvRmT2_T3_mT4_T5_T6_T7_T8_P12ihipStream_tbENKUlT_T0_E_clISt17integral_constantIbLb0EES12_IbLb1EEEEDaSY_SZ_EUlSY_E_NS1_11comp_targetILNS1_3genE4ELNS1_11target_archE910ELNS1_3gpuE8ELNS1_3repE0EEENS1_30default_config_static_selectorELNS0_4arch9wavefront6targetE0EEEvT1_ ; -- Begin function _ZN7rocprim17ROCPRIM_400000_NS6detail17trampoline_kernelINS0_14default_configENS1_29reduce_by_key_config_selectorIifN6thrust23THRUST_200600_302600_NS4plusIfEEEEZZNS1_33reduce_by_key_impl_wrapped_configILNS1_25lookback_scan_determinismE0ES3_S9_NS6_6detail15normal_iteratorINS6_10device_ptrIiEEEENSD_INSE_IfEEEESG_SI_PmS8_NS6_8equal_toIiEEEE10hipError_tPvRmT2_T3_mT4_T5_T6_T7_T8_P12ihipStream_tbENKUlT_T0_E_clISt17integral_constantIbLb0EES12_IbLb1EEEEDaSY_SZ_EUlSY_E_NS1_11comp_targetILNS1_3genE4ELNS1_11target_archE910ELNS1_3gpuE8ELNS1_3repE0EEENS1_30default_config_static_selectorELNS0_4arch9wavefront6targetE0EEEvT1_
	.globl	_ZN7rocprim17ROCPRIM_400000_NS6detail17trampoline_kernelINS0_14default_configENS1_29reduce_by_key_config_selectorIifN6thrust23THRUST_200600_302600_NS4plusIfEEEEZZNS1_33reduce_by_key_impl_wrapped_configILNS1_25lookback_scan_determinismE0ES3_S9_NS6_6detail15normal_iteratorINS6_10device_ptrIiEEEENSD_INSE_IfEEEESG_SI_PmS8_NS6_8equal_toIiEEEE10hipError_tPvRmT2_T3_mT4_T5_T6_T7_T8_P12ihipStream_tbENKUlT_T0_E_clISt17integral_constantIbLb0EES12_IbLb1EEEEDaSY_SZ_EUlSY_E_NS1_11comp_targetILNS1_3genE4ELNS1_11target_archE910ELNS1_3gpuE8ELNS1_3repE0EEENS1_30default_config_static_selectorELNS0_4arch9wavefront6targetE0EEEvT1_
	.p2align	8
	.type	_ZN7rocprim17ROCPRIM_400000_NS6detail17trampoline_kernelINS0_14default_configENS1_29reduce_by_key_config_selectorIifN6thrust23THRUST_200600_302600_NS4plusIfEEEEZZNS1_33reduce_by_key_impl_wrapped_configILNS1_25lookback_scan_determinismE0ES3_S9_NS6_6detail15normal_iteratorINS6_10device_ptrIiEEEENSD_INSE_IfEEEESG_SI_PmS8_NS6_8equal_toIiEEEE10hipError_tPvRmT2_T3_mT4_T5_T6_T7_T8_P12ihipStream_tbENKUlT_T0_E_clISt17integral_constantIbLb0EES12_IbLb1EEEEDaSY_SZ_EUlSY_E_NS1_11comp_targetILNS1_3genE4ELNS1_11target_archE910ELNS1_3gpuE8ELNS1_3repE0EEENS1_30default_config_static_selectorELNS0_4arch9wavefront6targetE0EEEvT1_,@function
_ZN7rocprim17ROCPRIM_400000_NS6detail17trampoline_kernelINS0_14default_configENS1_29reduce_by_key_config_selectorIifN6thrust23THRUST_200600_302600_NS4plusIfEEEEZZNS1_33reduce_by_key_impl_wrapped_configILNS1_25lookback_scan_determinismE0ES3_S9_NS6_6detail15normal_iteratorINS6_10device_ptrIiEEEENSD_INSE_IfEEEESG_SI_PmS8_NS6_8equal_toIiEEEE10hipError_tPvRmT2_T3_mT4_T5_T6_T7_T8_P12ihipStream_tbENKUlT_T0_E_clISt17integral_constantIbLb0EES12_IbLb1EEEEDaSY_SZ_EUlSY_E_NS1_11comp_targetILNS1_3genE4ELNS1_11target_archE910ELNS1_3gpuE8ELNS1_3repE0EEENS1_30default_config_static_selectorELNS0_4arch9wavefront6targetE0EEEvT1_: ; @_ZN7rocprim17ROCPRIM_400000_NS6detail17trampoline_kernelINS0_14default_configENS1_29reduce_by_key_config_selectorIifN6thrust23THRUST_200600_302600_NS4plusIfEEEEZZNS1_33reduce_by_key_impl_wrapped_configILNS1_25lookback_scan_determinismE0ES3_S9_NS6_6detail15normal_iteratorINS6_10device_ptrIiEEEENSD_INSE_IfEEEESG_SI_PmS8_NS6_8equal_toIiEEEE10hipError_tPvRmT2_T3_mT4_T5_T6_T7_T8_P12ihipStream_tbENKUlT_T0_E_clISt17integral_constantIbLb0EES12_IbLb1EEEEDaSY_SZ_EUlSY_E_NS1_11comp_targetILNS1_3genE4ELNS1_11target_archE910ELNS1_3gpuE8ELNS1_3repE0EEENS1_30default_config_static_selectorELNS0_4arch9wavefront6targetE0EEEvT1_
; %bb.0:
	.section	.rodata,"a",@progbits
	.p2align	6, 0x0
	.amdhsa_kernel _ZN7rocprim17ROCPRIM_400000_NS6detail17trampoline_kernelINS0_14default_configENS1_29reduce_by_key_config_selectorIifN6thrust23THRUST_200600_302600_NS4plusIfEEEEZZNS1_33reduce_by_key_impl_wrapped_configILNS1_25lookback_scan_determinismE0ES3_S9_NS6_6detail15normal_iteratorINS6_10device_ptrIiEEEENSD_INSE_IfEEEESG_SI_PmS8_NS6_8equal_toIiEEEE10hipError_tPvRmT2_T3_mT4_T5_T6_T7_T8_P12ihipStream_tbENKUlT_T0_E_clISt17integral_constantIbLb0EES12_IbLb1EEEEDaSY_SZ_EUlSY_E_NS1_11comp_targetILNS1_3genE4ELNS1_11target_archE910ELNS1_3gpuE8ELNS1_3repE0EEENS1_30default_config_static_selectorELNS0_4arch9wavefront6targetE0EEEvT1_
		.amdhsa_group_segment_fixed_size 0
		.amdhsa_private_segment_fixed_size 0
		.amdhsa_kernarg_size 120
		.amdhsa_user_sgpr_count 6
		.amdhsa_user_sgpr_private_segment_buffer 1
		.amdhsa_user_sgpr_dispatch_ptr 0
		.amdhsa_user_sgpr_queue_ptr 0
		.amdhsa_user_sgpr_kernarg_segment_ptr 1
		.amdhsa_user_sgpr_dispatch_id 0
		.amdhsa_user_sgpr_flat_scratch_init 0
		.amdhsa_user_sgpr_private_segment_size 0
		.amdhsa_wavefront_size32 1
		.amdhsa_uses_dynamic_stack 0
		.amdhsa_system_sgpr_private_segment_wavefront_offset 0
		.amdhsa_system_sgpr_workgroup_id_x 1
		.amdhsa_system_sgpr_workgroup_id_y 0
		.amdhsa_system_sgpr_workgroup_id_z 0
		.amdhsa_system_sgpr_workgroup_info 0
		.amdhsa_system_vgpr_workitem_id 0
		.amdhsa_next_free_vgpr 1
		.amdhsa_next_free_sgpr 1
		.amdhsa_reserve_vcc 0
		.amdhsa_reserve_flat_scratch 0
		.amdhsa_float_round_mode_32 0
		.amdhsa_float_round_mode_16_64 0
		.amdhsa_float_denorm_mode_32 3
		.amdhsa_float_denorm_mode_16_64 3
		.amdhsa_dx10_clamp 1
		.amdhsa_ieee_mode 1
		.amdhsa_fp16_overflow 0
		.amdhsa_workgroup_processor_mode 1
		.amdhsa_memory_ordered 1
		.amdhsa_forward_progress 1
		.amdhsa_shared_vgpr_count 0
		.amdhsa_exception_fp_ieee_invalid_op 0
		.amdhsa_exception_fp_denorm_src 0
		.amdhsa_exception_fp_ieee_div_zero 0
		.amdhsa_exception_fp_ieee_overflow 0
		.amdhsa_exception_fp_ieee_underflow 0
		.amdhsa_exception_fp_ieee_inexact 0
		.amdhsa_exception_int_div_zero 0
	.end_amdhsa_kernel
	.section	.text._ZN7rocprim17ROCPRIM_400000_NS6detail17trampoline_kernelINS0_14default_configENS1_29reduce_by_key_config_selectorIifN6thrust23THRUST_200600_302600_NS4plusIfEEEEZZNS1_33reduce_by_key_impl_wrapped_configILNS1_25lookback_scan_determinismE0ES3_S9_NS6_6detail15normal_iteratorINS6_10device_ptrIiEEEENSD_INSE_IfEEEESG_SI_PmS8_NS6_8equal_toIiEEEE10hipError_tPvRmT2_T3_mT4_T5_T6_T7_T8_P12ihipStream_tbENKUlT_T0_E_clISt17integral_constantIbLb0EES12_IbLb1EEEEDaSY_SZ_EUlSY_E_NS1_11comp_targetILNS1_3genE4ELNS1_11target_archE910ELNS1_3gpuE8ELNS1_3repE0EEENS1_30default_config_static_selectorELNS0_4arch9wavefront6targetE0EEEvT1_,"axG",@progbits,_ZN7rocprim17ROCPRIM_400000_NS6detail17trampoline_kernelINS0_14default_configENS1_29reduce_by_key_config_selectorIifN6thrust23THRUST_200600_302600_NS4plusIfEEEEZZNS1_33reduce_by_key_impl_wrapped_configILNS1_25lookback_scan_determinismE0ES3_S9_NS6_6detail15normal_iteratorINS6_10device_ptrIiEEEENSD_INSE_IfEEEESG_SI_PmS8_NS6_8equal_toIiEEEE10hipError_tPvRmT2_T3_mT4_T5_T6_T7_T8_P12ihipStream_tbENKUlT_T0_E_clISt17integral_constantIbLb0EES12_IbLb1EEEEDaSY_SZ_EUlSY_E_NS1_11comp_targetILNS1_3genE4ELNS1_11target_archE910ELNS1_3gpuE8ELNS1_3repE0EEENS1_30default_config_static_selectorELNS0_4arch9wavefront6targetE0EEEvT1_,comdat
.Lfunc_end98:
	.size	_ZN7rocprim17ROCPRIM_400000_NS6detail17trampoline_kernelINS0_14default_configENS1_29reduce_by_key_config_selectorIifN6thrust23THRUST_200600_302600_NS4plusIfEEEEZZNS1_33reduce_by_key_impl_wrapped_configILNS1_25lookback_scan_determinismE0ES3_S9_NS6_6detail15normal_iteratorINS6_10device_ptrIiEEEENSD_INSE_IfEEEESG_SI_PmS8_NS6_8equal_toIiEEEE10hipError_tPvRmT2_T3_mT4_T5_T6_T7_T8_P12ihipStream_tbENKUlT_T0_E_clISt17integral_constantIbLb0EES12_IbLb1EEEEDaSY_SZ_EUlSY_E_NS1_11comp_targetILNS1_3genE4ELNS1_11target_archE910ELNS1_3gpuE8ELNS1_3repE0EEENS1_30default_config_static_selectorELNS0_4arch9wavefront6targetE0EEEvT1_, .Lfunc_end98-_ZN7rocprim17ROCPRIM_400000_NS6detail17trampoline_kernelINS0_14default_configENS1_29reduce_by_key_config_selectorIifN6thrust23THRUST_200600_302600_NS4plusIfEEEEZZNS1_33reduce_by_key_impl_wrapped_configILNS1_25lookback_scan_determinismE0ES3_S9_NS6_6detail15normal_iteratorINS6_10device_ptrIiEEEENSD_INSE_IfEEEESG_SI_PmS8_NS6_8equal_toIiEEEE10hipError_tPvRmT2_T3_mT4_T5_T6_T7_T8_P12ihipStream_tbENKUlT_T0_E_clISt17integral_constantIbLb0EES12_IbLb1EEEEDaSY_SZ_EUlSY_E_NS1_11comp_targetILNS1_3genE4ELNS1_11target_archE910ELNS1_3gpuE8ELNS1_3repE0EEENS1_30default_config_static_selectorELNS0_4arch9wavefront6targetE0EEEvT1_
                                        ; -- End function
	.set _ZN7rocprim17ROCPRIM_400000_NS6detail17trampoline_kernelINS0_14default_configENS1_29reduce_by_key_config_selectorIifN6thrust23THRUST_200600_302600_NS4plusIfEEEEZZNS1_33reduce_by_key_impl_wrapped_configILNS1_25lookback_scan_determinismE0ES3_S9_NS6_6detail15normal_iteratorINS6_10device_ptrIiEEEENSD_INSE_IfEEEESG_SI_PmS8_NS6_8equal_toIiEEEE10hipError_tPvRmT2_T3_mT4_T5_T6_T7_T8_P12ihipStream_tbENKUlT_T0_E_clISt17integral_constantIbLb0EES12_IbLb1EEEEDaSY_SZ_EUlSY_E_NS1_11comp_targetILNS1_3genE4ELNS1_11target_archE910ELNS1_3gpuE8ELNS1_3repE0EEENS1_30default_config_static_selectorELNS0_4arch9wavefront6targetE0EEEvT1_.num_vgpr, 0
	.set _ZN7rocprim17ROCPRIM_400000_NS6detail17trampoline_kernelINS0_14default_configENS1_29reduce_by_key_config_selectorIifN6thrust23THRUST_200600_302600_NS4plusIfEEEEZZNS1_33reduce_by_key_impl_wrapped_configILNS1_25lookback_scan_determinismE0ES3_S9_NS6_6detail15normal_iteratorINS6_10device_ptrIiEEEENSD_INSE_IfEEEESG_SI_PmS8_NS6_8equal_toIiEEEE10hipError_tPvRmT2_T3_mT4_T5_T6_T7_T8_P12ihipStream_tbENKUlT_T0_E_clISt17integral_constantIbLb0EES12_IbLb1EEEEDaSY_SZ_EUlSY_E_NS1_11comp_targetILNS1_3genE4ELNS1_11target_archE910ELNS1_3gpuE8ELNS1_3repE0EEENS1_30default_config_static_selectorELNS0_4arch9wavefront6targetE0EEEvT1_.num_agpr, 0
	.set _ZN7rocprim17ROCPRIM_400000_NS6detail17trampoline_kernelINS0_14default_configENS1_29reduce_by_key_config_selectorIifN6thrust23THRUST_200600_302600_NS4plusIfEEEEZZNS1_33reduce_by_key_impl_wrapped_configILNS1_25lookback_scan_determinismE0ES3_S9_NS6_6detail15normal_iteratorINS6_10device_ptrIiEEEENSD_INSE_IfEEEESG_SI_PmS8_NS6_8equal_toIiEEEE10hipError_tPvRmT2_T3_mT4_T5_T6_T7_T8_P12ihipStream_tbENKUlT_T0_E_clISt17integral_constantIbLb0EES12_IbLb1EEEEDaSY_SZ_EUlSY_E_NS1_11comp_targetILNS1_3genE4ELNS1_11target_archE910ELNS1_3gpuE8ELNS1_3repE0EEENS1_30default_config_static_selectorELNS0_4arch9wavefront6targetE0EEEvT1_.numbered_sgpr, 0
	.set _ZN7rocprim17ROCPRIM_400000_NS6detail17trampoline_kernelINS0_14default_configENS1_29reduce_by_key_config_selectorIifN6thrust23THRUST_200600_302600_NS4plusIfEEEEZZNS1_33reduce_by_key_impl_wrapped_configILNS1_25lookback_scan_determinismE0ES3_S9_NS6_6detail15normal_iteratorINS6_10device_ptrIiEEEENSD_INSE_IfEEEESG_SI_PmS8_NS6_8equal_toIiEEEE10hipError_tPvRmT2_T3_mT4_T5_T6_T7_T8_P12ihipStream_tbENKUlT_T0_E_clISt17integral_constantIbLb0EES12_IbLb1EEEEDaSY_SZ_EUlSY_E_NS1_11comp_targetILNS1_3genE4ELNS1_11target_archE910ELNS1_3gpuE8ELNS1_3repE0EEENS1_30default_config_static_selectorELNS0_4arch9wavefront6targetE0EEEvT1_.num_named_barrier, 0
	.set _ZN7rocprim17ROCPRIM_400000_NS6detail17trampoline_kernelINS0_14default_configENS1_29reduce_by_key_config_selectorIifN6thrust23THRUST_200600_302600_NS4plusIfEEEEZZNS1_33reduce_by_key_impl_wrapped_configILNS1_25lookback_scan_determinismE0ES3_S9_NS6_6detail15normal_iteratorINS6_10device_ptrIiEEEENSD_INSE_IfEEEESG_SI_PmS8_NS6_8equal_toIiEEEE10hipError_tPvRmT2_T3_mT4_T5_T6_T7_T8_P12ihipStream_tbENKUlT_T0_E_clISt17integral_constantIbLb0EES12_IbLb1EEEEDaSY_SZ_EUlSY_E_NS1_11comp_targetILNS1_3genE4ELNS1_11target_archE910ELNS1_3gpuE8ELNS1_3repE0EEENS1_30default_config_static_selectorELNS0_4arch9wavefront6targetE0EEEvT1_.private_seg_size, 0
	.set _ZN7rocprim17ROCPRIM_400000_NS6detail17trampoline_kernelINS0_14default_configENS1_29reduce_by_key_config_selectorIifN6thrust23THRUST_200600_302600_NS4plusIfEEEEZZNS1_33reduce_by_key_impl_wrapped_configILNS1_25lookback_scan_determinismE0ES3_S9_NS6_6detail15normal_iteratorINS6_10device_ptrIiEEEENSD_INSE_IfEEEESG_SI_PmS8_NS6_8equal_toIiEEEE10hipError_tPvRmT2_T3_mT4_T5_T6_T7_T8_P12ihipStream_tbENKUlT_T0_E_clISt17integral_constantIbLb0EES12_IbLb1EEEEDaSY_SZ_EUlSY_E_NS1_11comp_targetILNS1_3genE4ELNS1_11target_archE910ELNS1_3gpuE8ELNS1_3repE0EEENS1_30default_config_static_selectorELNS0_4arch9wavefront6targetE0EEEvT1_.uses_vcc, 0
	.set _ZN7rocprim17ROCPRIM_400000_NS6detail17trampoline_kernelINS0_14default_configENS1_29reduce_by_key_config_selectorIifN6thrust23THRUST_200600_302600_NS4plusIfEEEEZZNS1_33reduce_by_key_impl_wrapped_configILNS1_25lookback_scan_determinismE0ES3_S9_NS6_6detail15normal_iteratorINS6_10device_ptrIiEEEENSD_INSE_IfEEEESG_SI_PmS8_NS6_8equal_toIiEEEE10hipError_tPvRmT2_T3_mT4_T5_T6_T7_T8_P12ihipStream_tbENKUlT_T0_E_clISt17integral_constantIbLb0EES12_IbLb1EEEEDaSY_SZ_EUlSY_E_NS1_11comp_targetILNS1_3genE4ELNS1_11target_archE910ELNS1_3gpuE8ELNS1_3repE0EEENS1_30default_config_static_selectorELNS0_4arch9wavefront6targetE0EEEvT1_.uses_flat_scratch, 0
	.set _ZN7rocprim17ROCPRIM_400000_NS6detail17trampoline_kernelINS0_14default_configENS1_29reduce_by_key_config_selectorIifN6thrust23THRUST_200600_302600_NS4plusIfEEEEZZNS1_33reduce_by_key_impl_wrapped_configILNS1_25lookback_scan_determinismE0ES3_S9_NS6_6detail15normal_iteratorINS6_10device_ptrIiEEEENSD_INSE_IfEEEESG_SI_PmS8_NS6_8equal_toIiEEEE10hipError_tPvRmT2_T3_mT4_T5_T6_T7_T8_P12ihipStream_tbENKUlT_T0_E_clISt17integral_constantIbLb0EES12_IbLb1EEEEDaSY_SZ_EUlSY_E_NS1_11comp_targetILNS1_3genE4ELNS1_11target_archE910ELNS1_3gpuE8ELNS1_3repE0EEENS1_30default_config_static_selectorELNS0_4arch9wavefront6targetE0EEEvT1_.has_dyn_sized_stack, 0
	.set _ZN7rocprim17ROCPRIM_400000_NS6detail17trampoline_kernelINS0_14default_configENS1_29reduce_by_key_config_selectorIifN6thrust23THRUST_200600_302600_NS4plusIfEEEEZZNS1_33reduce_by_key_impl_wrapped_configILNS1_25lookback_scan_determinismE0ES3_S9_NS6_6detail15normal_iteratorINS6_10device_ptrIiEEEENSD_INSE_IfEEEESG_SI_PmS8_NS6_8equal_toIiEEEE10hipError_tPvRmT2_T3_mT4_T5_T6_T7_T8_P12ihipStream_tbENKUlT_T0_E_clISt17integral_constantIbLb0EES12_IbLb1EEEEDaSY_SZ_EUlSY_E_NS1_11comp_targetILNS1_3genE4ELNS1_11target_archE910ELNS1_3gpuE8ELNS1_3repE0EEENS1_30default_config_static_selectorELNS0_4arch9wavefront6targetE0EEEvT1_.has_recursion, 0
	.set _ZN7rocprim17ROCPRIM_400000_NS6detail17trampoline_kernelINS0_14default_configENS1_29reduce_by_key_config_selectorIifN6thrust23THRUST_200600_302600_NS4plusIfEEEEZZNS1_33reduce_by_key_impl_wrapped_configILNS1_25lookback_scan_determinismE0ES3_S9_NS6_6detail15normal_iteratorINS6_10device_ptrIiEEEENSD_INSE_IfEEEESG_SI_PmS8_NS6_8equal_toIiEEEE10hipError_tPvRmT2_T3_mT4_T5_T6_T7_T8_P12ihipStream_tbENKUlT_T0_E_clISt17integral_constantIbLb0EES12_IbLb1EEEEDaSY_SZ_EUlSY_E_NS1_11comp_targetILNS1_3genE4ELNS1_11target_archE910ELNS1_3gpuE8ELNS1_3repE0EEENS1_30default_config_static_selectorELNS0_4arch9wavefront6targetE0EEEvT1_.has_indirect_call, 0
	.section	.AMDGPU.csdata,"",@progbits
; Kernel info:
; codeLenInByte = 0
; TotalNumSgprs: 0
; NumVgprs: 0
; ScratchSize: 0
; MemoryBound: 0
; FloatMode: 240
; IeeeMode: 1
; LDSByteSize: 0 bytes/workgroup (compile time only)
; SGPRBlocks: 0
; VGPRBlocks: 0
; NumSGPRsForWavesPerEU: 1
; NumVGPRsForWavesPerEU: 1
; Occupancy: 16
; WaveLimiterHint : 0
; COMPUTE_PGM_RSRC2:SCRATCH_EN: 0
; COMPUTE_PGM_RSRC2:USER_SGPR: 6
; COMPUTE_PGM_RSRC2:TRAP_HANDLER: 0
; COMPUTE_PGM_RSRC2:TGID_X_EN: 1
; COMPUTE_PGM_RSRC2:TGID_Y_EN: 0
; COMPUTE_PGM_RSRC2:TGID_Z_EN: 0
; COMPUTE_PGM_RSRC2:TIDIG_COMP_CNT: 0
	.section	.text._ZN7rocprim17ROCPRIM_400000_NS6detail17trampoline_kernelINS0_14default_configENS1_29reduce_by_key_config_selectorIifN6thrust23THRUST_200600_302600_NS4plusIfEEEEZZNS1_33reduce_by_key_impl_wrapped_configILNS1_25lookback_scan_determinismE0ES3_S9_NS6_6detail15normal_iteratorINS6_10device_ptrIiEEEENSD_INSE_IfEEEESG_SI_PmS8_NS6_8equal_toIiEEEE10hipError_tPvRmT2_T3_mT4_T5_T6_T7_T8_P12ihipStream_tbENKUlT_T0_E_clISt17integral_constantIbLb0EES12_IbLb1EEEEDaSY_SZ_EUlSY_E_NS1_11comp_targetILNS1_3genE3ELNS1_11target_archE908ELNS1_3gpuE7ELNS1_3repE0EEENS1_30default_config_static_selectorELNS0_4arch9wavefront6targetE0EEEvT1_,"axG",@progbits,_ZN7rocprim17ROCPRIM_400000_NS6detail17trampoline_kernelINS0_14default_configENS1_29reduce_by_key_config_selectorIifN6thrust23THRUST_200600_302600_NS4plusIfEEEEZZNS1_33reduce_by_key_impl_wrapped_configILNS1_25lookback_scan_determinismE0ES3_S9_NS6_6detail15normal_iteratorINS6_10device_ptrIiEEEENSD_INSE_IfEEEESG_SI_PmS8_NS6_8equal_toIiEEEE10hipError_tPvRmT2_T3_mT4_T5_T6_T7_T8_P12ihipStream_tbENKUlT_T0_E_clISt17integral_constantIbLb0EES12_IbLb1EEEEDaSY_SZ_EUlSY_E_NS1_11comp_targetILNS1_3genE3ELNS1_11target_archE908ELNS1_3gpuE7ELNS1_3repE0EEENS1_30default_config_static_selectorELNS0_4arch9wavefront6targetE0EEEvT1_,comdat
	.protected	_ZN7rocprim17ROCPRIM_400000_NS6detail17trampoline_kernelINS0_14default_configENS1_29reduce_by_key_config_selectorIifN6thrust23THRUST_200600_302600_NS4plusIfEEEEZZNS1_33reduce_by_key_impl_wrapped_configILNS1_25lookback_scan_determinismE0ES3_S9_NS6_6detail15normal_iteratorINS6_10device_ptrIiEEEENSD_INSE_IfEEEESG_SI_PmS8_NS6_8equal_toIiEEEE10hipError_tPvRmT2_T3_mT4_T5_T6_T7_T8_P12ihipStream_tbENKUlT_T0_E_clISt17integral_constantIbLb0EES12_IbLb1EEEEDaSY_SZ_EUlSY_E_NS1_11comp_targetILNS1_3genE3ELNS1_11target_archE908ELNS1_3gpuE7ELNS1_3repE0EEENS1_30default_config_static_selectorELNS0_4arch9wavefront6targetE0EEEvT1_ ; -- Begin function _ZN7rocprim17ROCPRIM_400000_NS6detail17trampoline_kernelINS0_14default_configENS1_29reduce_by_key_config_selectorIifN6thrust23THRUST_200600_302600_NS4plusIfEEEEZZNS1_33reduce_by_key_impl_wrapped_configILNS1_25lookback_scan_determinismE0ES3_S9_NS6_6detail15normal_iteratorINS6_10device_ptrIiEEEENSD_INSE_IfEEEESG_SI_PmS8_NS6_8equal_toIiEEEE10hipError_tPvRmT2_T3_mT4_T5_T6_T7_T8_P12ihipStream_tbENKUlT_T0_E_clISt17integral_constantIbLb0EES12_IbLb1EEEEDaSY_SZ_EUlSY_E_NS1_11comp_targetILNS1_3genE3ELNS1_11target_archE908ELNS1_3gpuE7ELNS1_3repE0EEENS1_30default_config_static_selectorELNS0_4arch9wavefront6targetE0EEEvT1_
	.globl	_ZN7rocprim17ROCPRIM_400000_NS6detail17trampoline_kernelINS0_14default_configENS1_29reduce_by_key_config_selectorIifN6thrust23THRUST_200600_302600_NS4plusIfEEEEZZNS1_33reduce_by_key_impl_wrapped_configILNS1_25lookback_scan_determinismE0ES3_S9_NS6_6detail15normal_iteratorINS6_10device_ptrIiEEEENSD_INSE_IfEEEESG_SI_PmS8_NS6_8equal_toIiEEEE10hipError_tPvRmT2_T3_mT4_T5_T6_T7_T8_P12ihipStream_tbENKUlT_T0_E_clISt17integral_constantIbLb0EES12_IbLb1EEEEDaSY_SZ_EUlSY_E_NS1_11comp_targetILNS1_3genE3ELNS1_11target_archE908ELNS1_3gpuE7ELNS1_3repE0EEENS1_30default_config_static_selectorELNS0_4arch9wavefront6targetE0EEEvT1_
	.p2align	8
	.type	_ZN7rocprim17ROCPRIM_400000_NS6detail17trampoline_kernelINS0_14default_configENS1_29reduce_by_key_config_selectorIifN6thrust23THRUST_200600_302600_NS4plusIfEEEEZZNS1_33reduce_by_key_impl_wrapped_configILNS1_25lookback_scan_determinismE0ES3_S9_NS6_6detail15normal_iteratorINS6_10device_ptrIiEEEENSD_INSE_IfEEEESG_SI_PmS8_NS6_8equal_toIiEEEE10hipError_tPvRmT2_T3_mT4_T5_T6_T7_T8_P12ihipStream_tbENKUlT_T0_E_clISt17integral_constantIbLb0EES12_IbLb1EEEEDaSY_SZ_EUlSY_E_NS1_11comp_targetILNS1_3genE3ELNS1_11target_archE908ELNS1_3gpuE7ELNS1_3repE0EEENS1_30default_config_static_selectorELNS0_4arch9wavefront6targetE0EEEvT1_,@function
_ZN7rocprim17ROCPRIM_400000_NS6detail17trampoline_kernelINS0_14default_configENS1_29reduce_by_key_config_selectorIifN6thrust23THRUST_200600_302600_NS4plusIfEEEEZZNS1_33reduce_by_key_impl_wrapped_configILNS1_25lookback_scan_determinismE0ES3_S9_NS6_6detail15normal_iteratorINS6_10device_ptrIiEEEENSD_INSE_IfEEEESG_SI_PmS8_NS6_8equal_toIiEEEE10hipError_tPvRmT2_T3_mT4_T5_T6_T7_T8_P12ihipStream_tbENKUlT_T0_E_clISt17integral_constantIbLb0EES12_IbLb1EEEEDaSY_SZ_EUlSY_E_NS1_11comp_targetILNS1_3genE3ELNS1_11target_archE908ELNS1_3gpuE7ELNS1_3repE0EEENS1_30default_config_static_selectorELNS0_4arch9wavefront6targetE0EEEvT1_: ; @_ZN7rocprim17ROCPRIM_400000_NS6detail17trampoline_kernelINS0_14default_configENS1_29reduce_by_key_config_selectorIifN6thrust23THRUST_200600_302600_NS4plusIfEEEEZZNS1_33reduce_by_key_impl_wrapped_configILNS1_25lookback_scan_determinismE0ES3_S9_NS6_6detail15normal_iteratorINS6_10device_ptrIiEEEENSD_INSE_IfEEEESG_SI_PmS8_NS6_8equal_toIiEEEE10hipError_tPvRmT2_T3_mT4_T5_T6_T7_T8_P12ihipStream_tbENKUlT_T0_E_clISt17integral_constantIbLb0EES12_IbLb1EEEEDaSY_SZ_EUlSY_E_NS1_11comp_targetILNS1_3genE3ELNS1_11target_archE908ELNS1_3gpuE7ELNS1_3repE0EEENS1_30default_config_static_selectorELNS0_4arch9wavefront6targetE0EEEvT1_
; %bb.0:
	.section	.rodata,"a",@progbits
	.p2align	6, 0x0
	.amdhsa_kernel _ZN7rocprim17ROCPRIM_400000_NS6detail17trampoline_kernelINS0_14default_configENS1_29reduce_by_key_config_selectorIifN6thrust23THRUST_200600_302600_NS4plusIfEEEEZZNS1_33reduce_by_key_impl_wrapped_configILNS1_25lookback_scan_determinismE0ES3_S9_NS6_6detail15normal_iteratorINS6_10device_ptrIiEEEENSD_INSE_IfEEEESG_SI_PmS8_NS6_8equal_toIiEEEE10hipError_tPvRmT2_T3_mT4_T5_T6_T7_T8_P12ihipStream_tbENKUlT_T0_E_clISt17integral_constantIbLb0EES12_IbLb1EEEEDaSY_SZ_EUlSY_E_NS1_11comp_targetILNS1_3genE3ELNS1_11target_archE908ELNS1_3gpuE7ELNS1_3repE0EEENS1_30default_config_static_selectorELNS0_4arch9wavefront6targetE0EEEvT1_
		.amdhsa_group_segment_fixed_size 0
		.amdhsa_private_segment_fixed_size 0
		.amdhsa_kernarg_size 120
		.amdhsa_user_sgpr_count 6
		.amdhsa_user_sgpr_private_segment_buffer 1
		.amdhsa_user_sgpr_dispatch_ptr 0
		.amdhsa_user_sgpr_queue_ptr 0
		.amdhsa_user_sgpr_kernarg_segment_ptr 1
		.amdhsa_user_sgpr_dispatch_id 0
		.amdhsa_user_sgpr_flat_scratch_init 0
		.amdhsa_user_sgpr_private_segment_size 0
		.amdhsa_wavefront_size32 1
		.amdhsa_uses_dynamic_stack 0
		.amdhsa_system_sgpr_private_segment_wavefront_offset 0
		.amdhsa_system_sgpr_workgroup_id_x 1
		.amdhsa_system_sgpr_workgroup_id_y 0
		.amdhsa_system_sgpr_workgroup_id_z 0
		.amdhsa_system_sgpr_workgroup_info 0
		.amdhsa_system_vgpr_workitem_id 0
		.amdhsa_next_free_vgpr 1
		.amdhsa_next_free_sgpr 1
		.amdhsa_reserve_vcc 0
		.amdhsa_reserve_flat_scratch 0
		.amdhsa_float_round_mode_32 0
		.amdhsa_float_round_mode_16_64 0
		.amdhsa_float_denorm_mode_32 3
		.amdhsa_float_denorm_mode_16_64 3
		.amdhsa_dx10_clamp 1
		.amdhsa_ieee_mode 1
		.amdhsa_fp16_overflow 0
		.amdhsa_workgroup_processor_mode 1
		.amdhsa_memory_ordered 1
		.amdhsa_forward_progress 1
		.amdhsa_shared_vgpr_count 0
		.amdhsa_exception_fp_ieee_invalid_op 0
		.amdhsa_exception_fp_denorm_src 0
		.amdhsa_exception_fp_ieee_div_zero 0
		.amdhsa_exception_fp_ieee_overflow 0
		.amdhsa_exception_fp_ieee_underflow 0
		.amdhsa_exception_fp_ieee_inexact 0
		.amdhsa_exception_int_div_zero 0
	.end_amdhsa_kernel
	.section	.text._ZN7rocprim17ROCPRIM_400000_NS6detail17trampoline_kernelINS0_14default_configENS1_29reduce_by_key_config_selectorIifN6thrust23THRUST_200600_302600_NS4plusIfEEEEZZNS1_33reduce_by_key_impl_wrapped_configILNS1_25lookback_scan_determinismE0ES3_S9_NS6_6detail15normal_iteratorINS6_10device_ptrIiEEEENSD_INSE_IfEEEESG_SI_PmS8_NS6_8equal_toIiEEEE10hipError_tPvRmT2_T3_mT4_T5_T6_T7_T8_P12ihipStream_tbENKUlT_T0_E_clISt17integral_constantIbLb0EES12_IbLb1EEEEDaSY_SZ_EUlSY_E_NS1_11comp_targetILNS1_3genE3ELNS1_11target_archE908ELNS1_3gpuE7ELNS1_3repE0EEENS1_30default_config_static_selectorELNS0_4arch9wavefront6targetE0EEEvT1_,"axG",@progbits,_ZN7rocprim17ROCPRIM_400000_NS6detail17trampoline_kernelINS0_14default_configENS1_29reduce_by_key_config_selectorIifN6thrust23THRUST_200600_302600_NS4plusIfEEEEZZNS1_33reduce_by_key_impl_wrapped_configILNS1_25lookback_scan_determinismE0ES3_S9_NS6_6detail15normal_iteratorINS6_10device_ptrIiEEEENSD_INSE_IfEEEESG_SI_PmS8_NS6_8equal_toIiEEEE10hipError_tPvRmT2_T3_mT4_T5_T6_T7_T8_P12ihipStream_tbENKUlT_T0_E_clISt17integral_constantIbLb0EES12_IbLb1EEEEDaSY_SZ_EUlSY_E_NS1_11comp_targetILNS1_3genE3ELNS1_11target_archE908ELNS1_3gpuE7ELNS1_3repE0EEENS1_30default_config_static_selectorELNS0_4arch9wavefront6targetE0EEEvT1_,comdat
.Lfunc_end99:
	.size	_ZN7rocprim17ROCPRIM_400000_NS6detail17trampoline_kernelINS0_14default_configENS1_29reduce_by_key_config_selectorIifN6thrust23THRUST_200600_302600_NS4plusIfEEEEZZNS1_33reduce_by_key_impl_wrapped_configILNS1_25lookback_scan_determinismE0ES3_S9_NS6_6detail15normal_iteratorINS6_10device_ptrIiEEEENSD_INSE_IfEEEESG_SI_PmS8_NS6_8equal_toIiEEEE10hipError_tPvRmT2_T3_mT4_T5_T6_T7_T8_P12ihipStream_tbENKUlT_T0_E_clISt17integral_constantIbLb0EES12_IbLb1EEEEDaSY_SZ_EUlSY_E_NS1_11comp_targetILNS1_3genE3ELNS1_11target_archE908ELNS1_3gpuE7ELNS1_3repE0EEENS1_30default_config_static_selectorELNS0_4arch9wavefront6targetE0EEEvT1_, .Lfunc_end99-_ZN7rocprim17ROCPRIM_400000_NS6detail17trampoline_kernelINS0_14default_configENS1_29reduce_by_key_config_selectorIifN6thrust23THRUST_200600_302600_NS4plusIfEEEEZZNS1_33reduce_by_key_impl_wrapped_configILNS1_25lookback_scan_determinismE0ES3_S9_NS6_6detail15normal_iteratorINS6_10device_ptrIiEEEENSD_INSE_IfEEEESG_SI_PmS8_NS6_8equal_toIiEEEE10hipError_tPvRmT2_T3_mT4_T5_T6_T7_T8_P12ihipStream_tbENKUlT_T0_E_clISt17integral_constantIbLb0EES12_IbLb1EEEEDaSY_SZ_EUlSY_E_NS1_11comp_targetILNS1_3genE3ELNS1_11target_archE908ELNS1_3gpuE7ELNS1_3repE0EEENS1_30default_config_static_selectorELNS0_4arch9wavefront6targetE0EEEvT1_
                                        ; -- End function
	.set _ZN7rocprim17ROCPRIM_400000_NS6detail17trampoline_kernelINS0_14default_configENS1_29reduce_by_key_config_selectorIifN6thrust23THRUST_200600_302600_NS4plusIfEEEEZZNS1_33reduce_by_key_impl_wrapped_configILNS1_25lookback_scan_determinismE0ES3_S9_NS6_6detail15normal_iteratorINS6_10device_ptrIiEEEENSD_INSE_IfEEEESG_SI_PmS8_NS6_8equal_toIiEEEE10hipError_tPvRmT2_T3_mT4_T5_T6_T7_T8_P12ihipStream_tbENKUlT_T0_E_clISt17integral_constantIbLb0EES12_IbLb1EEEEDaSY_SZ_EUlSY_E_NS1_11comp_targetILNS1_3genE3ELNS1_11target_archE908ELNS1_3gpuE7ELNS1_3repE0EEENS1_30default_config_static_selectorELNS0_4arch9wavefront6targetE0EEEvT1_.num_vgpr, 0
	.set _ZN7rocprim17ROCPRIM_400000_NS6detail17trampoline_kernelINS0_14default_configENS1_29reduce_by_key_config_selectorIifN6thrust23THRUST_200600_302600_NS4plusIfEEEEZZNS1_33reduce_by_key_impl_wrapped_configILNS1_25lookback_scan_determinismE0ES3_S9_NS6_6detail15normal_iteratorINS6_10device_ptrIiEEEENSD_INSE_IfEEEESG_SI_PmS8_NS6_8equal_toIiEEEE10hipError_tPvRmT2_T3_mT4_T5_T6_T7_T8_P12ihipStream_tbENKUlT_T0_E_clISt17integral_constantIbLb0EES12_IbLb1EEEEDaSY_SZ_EUlSY_E_NS1_11comp_targetILNS1_3genE3ELNS1_11target_archE908ELNS1_3gpuE7ELNS1_3repE0EEENS1_30default_config_static_selectorELNS0_4arch9wavefront6targetE0EEEvT1_.num_agpr, 0
	.set _ZN7rocprim17ROCPRIM_400000_NS6detail17trampoline_kernelINS0_14default_configENS1_29reduce_by_key_config_selectorIifN6thrust23THRUST_200600_302600_NS4plusIfEEEEZZNS1_33reduce_by_key_impl_wrapped_configILNS1_25lookback_scan_determinismE0ES3_S9_NS6_6detail15normal_iteratorINS6_10device_ptrIiEEEENSD_INSE_IfEEEESG_SI_PmS8_NS6_8equal_toIiEEEE10hipError_tPvRmT2_T3_mT4_T5_T6_T7_T8_P12ihipStream_tbENKUlT_T0_E_clISt17integral_constantIbLb0EES12_IbLb1EEEEDaSY_SZ_EUlSY_E_NS1_11comp_targetILNS1_3genE3ELNS1_11target_archE908ELNS1_3gpuE7ELNS1_3repE0EEENS1_30default_config_static_selectorELNS0_4arch9wavefront6targetE0EEEvT1_.numbered_sgpr, 0
	.set _ZN7rocprim17ROCPRIM_400000_NS6detail17trampoline_kernelINS0_14default_configENS1_29reduce_by_key_config_selectorIifN6thrust23THRUST_200600_302600_NS4plusIfEEEEZZNS1_33reduce_by_key_impl_wrapped_configILNS1_25lookback_scan_determinismE0ES3_S9_NS6_6detail15normal_iteratorINS6_10device_ptrIiEEEENSD_INSE_IfEEEESG_SI_PmS8_NS6_8equal_toIiEEEE10hipError_tPvRmT2_T3_mT4_T5_T6_T7_T8_P12ihipStream_tbENKUlT_T0_E_clISt17integral_constantIbLb0EES12_IbLb1EEEEDaSY_SZ_EUlSY_E_NS1_11comp_targetILNS1_3genE3ELNS1_11target_archE908ELNS1_3gpuE7ELNS1_3repE0EEENS1_30default_config_static_selectorELNS0_4arch9wavefront6targetE0EEEvT1_.num_named_barrier, 0
	.set _ZN7rocprim17ROCPRIM_400000_NS6detail17trampoline_kernelINS0_14default_configENS1_29reduce_by_key_config_selectorIifN6thrust23THRUST_200600_302600_NS4plusIfEEEEZZNS1_33reduce_by_key_impl_wrapped_configILNS1_25lookback_scan_determinismE0ES3_S9_NS6_6detail15normal_iteratorINS6_10device_ptrIiEEEENSD_INSE_IfEEEESG_SI_PmS8_NS6_8equal_toIiEEEE10hipError_tPvRmT2_T3_mT4_T5_T6_T7_T8_P12ihipStream_tbENKUlT_T0_E_clISt17integral_constantIbLb0EES12_IbLb1EEEEDaSY_SZ_EUlSY_E_NS1_11comp_targetILNS1_3genE3ELNS1_11target_archE908ELNS1_3gpuE7ELNS1_3repE0EEENS1_30default_config_static_selectorELNS0_4arch9wavefront6targetE0EEEvT1_.private_seg_size, 0
	.set _ZN7rocprim17ROCPRIM_400000_NS6detail17trampoline_kernelINS0_14default_configENS1_29reduce_by_key_config_selectorIifN6thrust23THRUST_200600_302600_NS4plusIfEEEEZZNS1_33reduce_by_key_impl_wrapped_configILNS1_25lookback_scan_determinismE0ES3_S9_NS6_6detail15normal_iteratorINS6_10device_ptrIiEEEENSD_INSE_IfEEEESG_SI_PmS8_NS6_8equal_toIiEEEE10hipError_tPvRmT2_T3_mT4_T5_T6_T7_T8_P12ihipStream_tbENKUlT_T0_E_clISt17integral_constantIbLb0EES12_IbLb1EEEEDaSY_SZ_EUlSY_E_NS1_11comp_targetILNS1_3genE3ELNS1_11target_archE908ELNS1_3gpuE7ELNS1_3repE0EEENS1_30default_config_static_selectorELNS0_4arch9wavefront6targetE0EEEvT1_.uses_vcc, 0
	.set _ZN7rocprim17ROCPRIM_400000_NS6detail17trampoline_kernelINS0_14default_configENS1_29reduce_by_key_config_selectorIifN6thrust23THRUST_200600_302600_NS4plusIfEEEEZZNS1_33reduce_by_key_impl_wrapped_configILNS1_25lookback_scan_determinismE0ES3_S9_NS6_6detail15normal_iteratorINS6_10device_ptrIiEEEENSD_INSE_IfEEEESG_SI_PmS8_NS6_8equal_toIiEEEE10hipError_tPvRmT2_T3_mT4_T5_T6_T7_T8_P12ihipStream_tbENKUlT_T0_E_clISt17integral_constantIbLb0EES12_IbLb1EEEEDaSY_SZ_EUlSY_E_NS1_11comp_targetILNS1_3genE3ELNS1_11target_archE908ELNS1_3gpuE7ELNS1_3repE0EEENS1_30default_config_static_selectorELNS0_4arch9wavefront6targetE0EEEvT1_.uses_flat_scratch, 0
	.set _ZN7rocprim17ROCPRIM_400000_NS6detail17trampoline_kernelINS0_14default_configENS1_29reduce_by_key_config_selectorIifN6thrust23THRUST_200600_302600_NS4plusIfEEEEZZNS1_33reduce_by_key_impl_wrapped_configILNS1_25lookback_scan_determinismE0ES3_S9_NS6_6detail15normal_iteratorINS6_10device_ptrIiEEEENSD_INSE_IfEEEESG_SI_PmS8_NS6_8equal_toIiEEEE10hipError_tPvRmT2_T3_mT4_T5_T6_T7_T8_P12ihipStream_tbENKUlT_T0_E_clISt17integral_constantIbLb0EES12_IbLb1EEEEDaSY_SZ_EUlSY_E_NS1_11comp_targetILNS1_3genE3ELNS1_11target_archE908ELNS1_3gpuE7ELNS1_3repE0EEENS1_30default_config_static_selectorELNS0_4arch9wavefront6targetE0EEEvT1_.has_dyn_sized_stack, 0
	.set _ZN7rocprim17ROCPRIM_400000_NS6detail17trampoline_kernelINS0_14default_configENS1_29reduce_by_key_config_selectorIifN6thrust23THRUST_200600_302600_NS4plusIfEEEEZZNS1_33reduce_by_key_impl_wrapped_configILNS1_25lookback_scan_determinismE0ES3_S9_NS6_6detail15normal_iteratorINS6_10device_ptrIiEEEENSD_INSE_IfEEEESG_SI_PmS8_NS6_8equal_toIiEEEE10hipError_tPvRmT2_T3_mT4_T5_T6_T7_T8_P12ihipStream_tbENKUlT_T0_E_clISt17integral_constantIbLb0EES12_IbLb1EEEEDaSY_SZ_EUlSY_E_NS1_11comp_targetILNS1_3genE3ELNS1_11target_archE908ELNS1_3gpuE7ELNS1_3repE0EEENS1_30default_config_static_selectorELNS0_4arch9wavefront6targetE0EEEvT1_.has_recursion, 0
	.set _ZN7rocprim17ROCPRIM_400000_NS6detail17trampoline_kernelINS0_14default_configENS1_29reduce_by_key_config_selectorIifN6thrust23THRUST_200600_302600_NS4plusIfEEEEZZNS1_33reduce_by_key_impl_wrapped_configILNS1_25lookback_scan_determinismE0ES3_S9_NS6_6detail15normal_iteratorINS6_10device_ptrIiEEEENSD_INSE_IfEEEESG_SI_PmS8_NS6_8equal_toIiEEEE10hipError_tPvRmT2_T3_mT4_T5_T6_T7_T8_P12ihipStream_tbENKUlT_T0_E_clISt17integral_constantIbLb0EES12_IbLb1EEEEDaSY_SZ_EUlSY_E_NS1_11comp_targetILNS1_3genE3ELNS1_11target_archE908ELNS1_3gpuE7ELNS1_3repE0EEENS1_30default_config_static_selectorELNS0_4arch9wavefront6targetE0EEEvT1_.has_indirect_call, 0
	.section	.AMDGPU.csdata,"",@progbits
; Kernel info:
; codeLenInByte = 0
; TotalNumSgprs: 0
; NumVgprs: 0
; ScratchSize: 0
; MemoryBound: 0
; FloatMode: 240
; IeeeMode: 1
; LDSByteSize: 0 bytes/workgroup (compile time only)
; SGPRBlocks: 0
; VGPRBlocks: 0
; NumSGPRsForWavesPerEU: 1
; NumVGPRsForWavesPerEU: 1
; Occupancy: 16
; WaveLimiterHint : 0
; COMPUTE_PGM_RSRC2:SCRATCH_EN: 0
; COMPUTE_PGM_RSRC2:USER_SGPR: 6
; COMPUTE_PGM_RSRC2:TRAP_HANDLER: 0
; COMPUTE_PGM_RSRC2:TGID_X_EN: 1
; COMPUTE_PGM_RSRC2:TGID_Y_EN: 0
; COMPUTE_PGM_RSRC2:TGID_Z_EN: 0
; COMPUTE_PGM_RSRC2:TIDIG_COMP_CNT: 0
	.section	.text._ZN7rocprim17ROCPRIM_400000_NS6detail17trampoline_kernelINS0_14default_configENS1_29reduce_by_key_config_selectorIifN6thrust23THRUST_200600_302600_NS4plusIfEEEEZZNS1_33reduce_by_key_impl_wrapped_configILNS1_25lookback_scan_determinismE0ES3_S9_NS6_6detail15normal_iteratorINS6_10device_ptrIiEEEENSD_INSE_IfEEEESG_SI_PmS8_NS6_8equal_toIiEEEE10hipError_tPvRmT2_T3_mT4_T5_T6_T7_T8_P12ihipStream_tbENKUlT_T0_E_clISt17integral_constantIbLb0EES12_IbLb1EEEEDaSY_SZ_EUlSY_E_NS1_11comp_targetILNS1_3genE2ELNS1_11target_archE906ELNS1_3gpuE6ELNS1_3repE0EEENS1_30default_config_static_selectorELNS0_4arch9wavefront6targetE0EEEvT1_,"axG",@progbits,_ZN7rocprim17ROCPRIM_400000_NS6detail17trampoline_kernelINS0_14default_configENS1_29reduce_by_key_config_selectorIifN6thrust23THRUST_200600_302600_NS4plusIfEEEEZZNS1_33reduce_by_key_impl_wrapped_configILNS1_25lookback_scan_determinismE0ES3_S9_NS6_6detail15normal_iteratorINS6_10device_ptrIiEEEENSD_INSE_IfEEEESG_SI_PmS8_NS6_8equal_toIiEEEE10hipError_tPvRmT2_T3_mT4_T5_T6_T7_T8_P12ihipStream_tbENKUlT_T0_E_clISt17integral_constantIbLb0EES12_IbLb1EEEEDaSY_SZ_EUlSY_E_NS1_11comp_targetILNS1_3genE2ELNS1_11target_archE906ELNS1_3gpuE6ELNS1_3repE0EEENS1_30default_config_static_selectorELNS0_4arch9wavefront6targetE0EEEvT1_,comdat
	.protected	_ZN7rocprim17ROCPRIM_400000_NS6detail17trampoline_kernelINS0_14default_configENS1_29reduce_by_key_config_selectorIifN6thrust23THRUST_200600_302600_NS4plusIfEEEEZZNS1_33reduce_by_key_impl_wrapped_configILNS1_25lookback_scan_determinismE0ES3_S9_NS6_6detail15normal_iteratorINS6_10device_ptrIiEEEENSD_INSE_IfEEEESG_SI_PmS8_NS6_8equal_toIiEEEE10hipError_tPvRmT2_T3_mT4_T5_T6_T7_T8_P12ihipStream_tbENKUlT_T0_E_clISt17integral_constantIbLb0EES12_IbLb1EEEEDaSY_SZ_EUlSY_E_NS1_11comp_targetILNS1_3genE2ELNS1_11target_archE906ELNS1_3gpuE6ELNS1_3repE0EEENS1_30default_config_static_selectorELNS0_4arch9wavefront6targetE0EEEvT1_ ; -- Begin function _ZN7rocprim17ROCPRIM_400000_NS6detail17trampoline_kernelINS0_14default_configENS1_29reduce_by_key_config_selectorIifN6thrust23THRUST_200600_302600_NS4plusIfEEEEZZNS1_33reduce_by_key_impl_wrapped_configILNS1_25lookback_scan_determinismE0ES3_S9_NS6_6detail15normal_iteratorINS6_10device_ptrIiEEEENSD_INSE_IfEEEESG_SI_PmS8_NS6_8equal_toIiEEEE10hipError_tPvRmT2_T3_mT4_T5_T6_T7_T8_P12ihipStream_tbENKUlT_T0_E_clISt17integral_constantIbLb0EES12_IbLb1EEEEDaSY_SZ_EUlSY_E_NS1_11comp_targetILNS1_3genE2ELNS1_11target_archE906ELNS1_3gpuE6ELNS1_3repE0EEENS1_30default_config_static_selectorELNS0_4arch9wavefront6targetE0EEEvT1_
	.globl	_ZN7rocprim17ROCPRIM_400000_NS6detail17trampoline_kernelINS0_14default_configENS1_29reduce_by_key_config_selectorIifN6thrust23THRUST_200600_302600_NS4plusIfEEEEZZNS1_33reduce_by_key_impl_wrapped_configILNS1_25lookback_scan_determinismE0ES3_S9_NS6_6detail15normal_iteratorINS6_10device_ptrIiEEEENSD_INSE_IfEEEESG_SI_PmS8_NS6_8equal_toIiEEEE10hipError_tPvRmT2_T3_mT4_T5_T6_T7_T8_P12ihipStream_tbENKUlT_T0_E_clISt17integral_constantIbLb0EES12_IbLb1EEEEDaSY_SZ_EUlSY_E_NS1_11comp_targetILNS1_3genE2ELNS1_11target_archE906ELNS1_3gpuE6ELNS1_3repE0EEENS1_30default_config_static_selectorELNS0_4arch9wavefront6targetE0EEEvT1_
	.p2align	8
	.type	_ZN7rocprim17ROCPRIM_400000_NS6detail17trampoline_kernelINS0_14default_configENS1_29reduce_by_key_config_selectorIifN6thrust23THRUST_200600_302600_NS4plusIfEEEEZZNS1_33reduce_by_key_impl_wrapped_configILNS1_25lookback_scan_determinismE0ES3_S9_NS6_6detail15normal_iteratorINS6_10device_ptrIiEEEENSD_INSE_IfEEEESG_SI_PmS8_NS6_8equal_toIiEEEE10hipError_tPvRmT2_T3_mT4_T5_T6_T7_T8_P12ihipStream_tbENKUlT_T0_E_clISt17integral_constantIbLb0EES12_IbLb1EEEEDaSY_SZ_EUlSY_E_NS1_11comp_targetILNS1_3genE2ELNS1_11target_archE906ELNS1_3gpuE6ELNS1_3repE0EEENS1_30default_config_static_selectorELNS0_4arch9wavefront6targetE0EEEvT1_,@function
_ZN7rocprim17ROCPRIM_400000_NS6detail17trampoline_kernelINS0_14default_configENS1_29reduce_by_key_config_selectorIifN6thrust23THRUST_200600_302600_NS4plusIfEEEEZZNS1_33reduce_by_key_impl_wrapped_configILNS1_25lookback_scan_determinismE0ES3_S9_NS6_6detail15normal_iteratorINS6_10device_ptrIiEEEENSD_INSE_IfEEEESG_SI_PmS8_NS6_8equal_toIiEEEE10hipError_tPvRmT2_T3_mT4_T5_T6_T7_T8_P12ihipStream_tbENKUlT_T0_E_clISt17integral_constantIbLb0EES12_IbLb1EEEEDaSY_SZ_EUlSY_E_NS1_11comp_targetILNS1_3genE2ELNS1_11target_archE906ELNS1_3gpuE6ELNS1_3repE0EEENS1_30default_config_static_selectorELNS0_4arch9wavefront6targetE0EEEvT1_: ; @_ZN7rocprim17ROCPRIM_400000_NS6detail17trampoline_kernelINS0_14default_configENS1_29reduce_by_key_config_selectorIifN6thrust23THRUST_200600_302600_NS4plusIfEEEEZZNS1_33reduce_by_key_impl_wrapped_configILNS1_25lookback_scan_determinismE0ES3_S9_NS6_6detail15normal_iteratorINS6_10device_ptrIiEEEENSD_INSE_IfEEEESG_SI_PmS8_NS6_8equal_toIiEEEE10hipError_tPvRmT2_T3_mT4_T5_T6_T7_T8_P12ihipStream_tbENKUlT_T0_E_clISt17integral_constantIbLb0EES12_IbLb1EEEEDaSY_SZ_EUlSY_E_NS1_11comp_targetILNS1_3genE2ELNS1_11target_archE906ELNS1_3gpuE6ELNS1_3repE0EEENS1_30default_config_static_selectorELNS0_4arch9wavefront6targetE0EEEvT1_
; %bb.0:
	.section	.rodata,"a",@progbits
	.p2align	6, 0x0
	.amdhsa_kernel _ZN7rocprim17ROCPRIM_400000_NS6detail17trampoline_kernelINS0_14default_configENS1_29reduce_by_key_config_selectorIifN6thrust23THRUST_200600_302600_NS4plusIfEEEEZZNS1_33reduce_by_key_impl_wrapped_configILNS1_25lookback_scan_determinismE0ES3_S9_NS6_6detail15normal_iteratorINS6_10device_ptrIiEEEENSD_INSE_IfEEEESG_SI_PmS8_NS6_8equal_toIiEEEE10hipError_tPvRmT2_T3_mT4_T5_T6_T7_T8_P12ihipStream_tbENKUlT_T0_E_clISt17integral_constantIbLb0EES12_IbLb1EEEEDaSY_SZ_EUlSY_E_NS1_11comp_targetILNS1_3genE2ELNS1_11target_archE906ELNS1_3gpuE6ELNS1_3repE0EEENS1_30default_config_static_selectorELNS0_4arch9wavefront6targetE0EEEvT1_
		.amdhsa_group_segment_fixed_size 0
		.amdhsa_private_segment_fixed_size 0
		.amdhsa_kernarg_size 120
		.amdhsa_user_sgpr_count 6
		.amdhsa_user_sgpr_private_segment_buffer 1
		.amdhsa_user_sgpr_dispatch_ptr 0
		.amdhsa_user_sgpr_queue_ptr 0
		.amdhsa_user_sgpr_kernarg_segment_ptr 1
		.amdhsa_user_sgpr_dispatch_id 0
		.amdhsa_user_sgpr_flat_scratch_init 0
		.amdhsa_user_sgpr_private_segment_size 0
		.amdhsa_wavefront_size32 1
		.amdhsa_uses_dynamic_stack 0
		.amdhsa_system_sgpr_private_segment_wavefront_offset 0
		.amdhsa_system_sgpr_workgroup_id_x 1
		.amdhsa_system_sgpr_workgroup_id_y 0
		.amdhsa_system_sgpr_workgroup_id_z 0
		.amdhsa_system_sgpr_workgroup_info 0
		.amdhsa_system_vgpr_workitem_id 0
		.amdhsa_next_free_vgpr 1
		.amdhsa_next_free_sgpr 1
		.amdhsa_reserve_vcc 0
		.amdhsa_reserve_flat_scratch 0
		.amdhsa_float_round_mode_32 0
		.amdhsa_float_round_mode_16_64 0
		.amdhsa_float_denorm_mode_32 3
		.amdhsa_float_denorm_mode_16_64 3
		.amdhsa_dx10_clamp 1
		.amdhsa_ieee_mode 1
		.amdhsa_fp16_overflow 0
		.amdhsa_workgroup_processor_mode 1
		.amdhsa_memory_ordered 1
		.amdhsa_forward_progress 1
		.amdhsa_shared_vgpr_count 0
		.amdhsa_exception_fp_ieee_invalid_op 0
		.amdhsa_exception_fp_denorm_src 0
		.amdhsa_exception_fp_ieee_div_zero 0
		.amdhsa_exception_fp_ieee_overflow 0
		.amdhsa_exception_fp_ieee_underflow 0
		.amdhsa_exception_fp_ieee_inexact 0
		.amdhsa_exception_int_div_zero 0
	.end_amdhsa_kernel
	.section	.text._ZN7rocprim17ROCPRIM_400000_NS6detail17trampoline_kernelINS0_14default_configENS1_29reduce_by_key_config_selectorIifN6thrust23THRUST_200600_302600_NS4plusIfEEEEZZNS1_33reduce_by_key_impl_wrapped_configILNS1_25lookback_scan_determinismE0ES3_S9_NS6_6detail15normal_iteratorINS6_10device_ptrIiEEEENSD_INSE_IfEEEESG_SI_PmS8_NS6_8equal_toIiEEEE10hipError_tPvRmT2_T3_mT4_T5_T6_T7_T8_P12ihipStream_tbENKUlT_T0_E_clISt17integral_constantIbLb0EES12_IbLb1EEEEDaSY_SZ_EUlSY_E_NS1_11comp_targetILNS1_3genE2ELNS1_11target_archE906ELNS1_3gpuE6ELNS1_3repE0EEENS1_30default_config_static_selectorELNS0_4arch9wavefront6targetE0EEEvT1_,"axG",@progbits,_ZN7rocprim17ROCPRIM_400000_NS6detail17trampoline_kernelINS0_14default_configENS1_29reduce_by_key_config_selectorIifN6thrust23THRUST_200600_302600_NS4plusIfEEEEZZNS1_33reduce_by_key_impl_wrapped_configILNS1_25lookback_scan_determinismE0ES3_S9_NS6_6detail15normal_iteratorINS6_10device_ptrIiEEEENSD_INSE_IfEEEESG_SI_PmS8_NS6_8equal_toIiEEEE10hipError_tPvRmT2_T3_mT4_T5_T6_T7_T8_P12ihipStream_tbENKUlT_T0_E_clISt17integral_constantIbLb0EES12_IbLb1EEEEDaSY_SZ_EUlSY_E_NS1_11comp_targetILNS1_3genE2ELNS1_11target_archE906ELNS1_3gpuE6ELNS1_3repE0EEENS1_30default_config_static_selectorELNS0_4arch9wavefront6targetE0EEEvT1_,comdat
.Lfunc_end100:
	.size	_ZN7rocprim17ROCPRIM_400000_NS6detail17trampoline_kernelINS0_14default_configENS1_29reduce_by_key_config_selectorIifN6thrust23THRUST_200600_302600_NS4plusIfEEEEZZNS1_33reduce_by_key_impl_wrapped_configILNS1_25lookback_scan_determinismE0ES3_S9_NS6_6detail15normal_iteratorINS6_10device_ptrIiEEEENSD_INSE_IfEEEESG_SI_PmS8_NS6_8equal_toIiEEEE10hipError_tPvRmT2_T3_mT4_T5_T6_T7_T8_P12ihipStream_tbENKUlT_T0_E_clISt17integral_constantIbLb0EES12_IbLb1EEEEDaSY_SZ_EUlSY_E_NS1_11comp_targetILNS1_3genE2ELNS1_11target_archE906ELNS1_3gpuE6ELNS1_3repE0EEENS1_30default_config_static_selectorELNS0_4arch9wavefront6targetE0EEEvT1_, .Lfunc_end100-_ZN7rocprim17ROCPRIM_400000_NS6detail17trampoline_kernelINS0_14default_configENS1_29reduce_by_key_config_selectorIifN6thrust23THRUST_200600_302600_NS4plusIfEEEEZZNS1_33reduce_by_key_impl_wrapped_configILNS1_25lookback_scan_determinismE0ES3_S9_NS6_6detail15normal_iteratorINS6_10device_ptrIiEEEENSD_INSE_IfEEEESG_SI_PmS8_NS6_8equal_toIiEEEE10hipError_tPvRmT2_T3_mT4_T5_T6_T7_T8_P12ihipStream_tbENKUlT_T0_E_clISt17integral_constantIbLb0EES12_IbLb1EEEEDaSY_SZ_EUlSY_E_NS1_11comp_targetILNS1_3genE2ELNS1_11target_archE906ELNS1_3gpuE6ELNS1_3repE0EEENS1_30default_config_static_selectorELNS0_4arch9wavefront6targetE0EEEvT1_
                                        ; -- End function
	.set _ZN7rocprim17ROCPRIM_400000_NS6detail17trampoline_kernelINS0_14default_configENS1_29reduce_by_key_config_selectorIifN6thrust23THRUST_200600_302600_NS4plusIfEEEEZZNS1_33reduce_by_key_impl_wrapped_configILNS1_25lookback_scan_determinismE0ES3_S9_NS6_6detail15normal_iteratorINS6_10device_ptrIiEEEENSD_INSE_IfEEEESG_SI_PmS8_NS6_8equal_toIiEEEE10hipError_tPvRmT2_T3_mT4_T5_T6_T7_T8_P12ihipStream_tbENKUlT_T0_E_clISt17integral_constantIbLb0EES12_IbLb1EEEEDaSY_SZ_EUlSY_E_NS1_11comp_targetILNS1_3genE2ELNS1_11target_archE906ELNS1_3gpuE6ELNS1_3repE0EEENS1_30default_config_static_selectorELNS0_4arch9wavefront6targetE0EEEvT1_.num_vgpr, 0
	.set _ZN7rocprim17ROCPRIM_400000_NS6detail17trampoline_kernelINS0_14default_configENS1_29reduce_by_key_config_selectorIifN6thrust23THRUST_200600_302600_NS4plusIfEEEEZZNS1_33reduce_by_key_impl_wrapped_configILNS1_25lookback_scan_determinismE0ES3_S9_NS6_6detail15normal_iteratorINS6_10device_ptrIiEEEENSD_INSE_IfEEEESG_SI_PmS8_NS6_8equal_toIiEEEE10hipError_tPvRmT2_T3_mT4_T5_T6_T7_T8_P12ihipStream_tbENKUlT_T0_E_clISt17integral_constantIbLb0EES12_IbLb1EEEEDaSY_SZ_EUlSY_E_NS1_11comp_targetILNS1_3genE2ELNS1_11target_archE906ELNS1_3gpuE6ELNS1_3repE0EEENS1_30default_config_static_selectorELNS0_4arch9wavefront6targetE0EEEvT1_.num_agpr, 0
	.set _ZN7rocprim17ROCPRIM_400000_NS6detail17trampoline_kernelINS0_14default_configENS1_29reduce_by_key_config_selectorIifN6thrust23THRUST_200600_302600_NS4plusIfEEEEZZNS1_33reduce_by_key_impl_wrapped_configILNS1_25lookback_scan_determinismE0ES3_S9_NS6_6detail15normal_iteratorINS6_10device_ptrIiEEEENSD_INSE_IfEEEESG_SI_PmS8_NS6_8equal_toIiEEEE10hipError_tPvRmT2_T3_mT4_T5_T6_T7_T8_P12ihipStream_tbENKUlT_T0_E_clISt17integral_constantIbLb0EES12_IbLb1EEEEDaSY_SZ_EUlSY_E_NS1_11comp_targetILNS1_3genE2ELNS1_11target_archE906ELNS1_3gpuE6ELNS1_3repE0EEENS1_30default_config_static_selectorELNS0_4arch9wavefront6targetE0EEEvT1_.numbered_sgpr, 0
	.set _ZN7rocprim17ROCPRIM_400000_NS6detail17trampoline_kernelINS0_14default_configENS1_29reduce_by_key_config_selectorIifN6thrust23THRUST_200600_302600_NS4plusIfEEEEZZNS1_33reduce_by_key_impl_wrapped_configILNS1_25lookback_scan_determinismE0ES3_S9_NS6_6detail15normal_iteratorINS6_10device_ptrIiEEEENSD_INSE_IfEEEESG_SI_PmS8_NS6_8equal_toIiEEEE10hipError_tPvRmT2_T3_mT4_T5_T6_T7_T8_P12ihipStream_tbENKUlT_T0_E_clISt17integral_constantIbLb0EES12_IbLb1EEEEDaSY_SZ_EUlSY_E_NS1_11comp_targetILNS1_3genE2ELNS1_11target_archE906ELNS1_3gpuE6ELNS1_3repE0EEENS1_30default_config_static_selectorELNS0_4arch9wavefront6targetE0EEEvT1_.num_named_barrier, 0
	.set _ZN7rocprim17ROCPRIM_400000_NS6detail17trampoline_kernelINS0_14default_configENS1_29reduce_by_key_config_selectorIifN6thrust23THRUST_200600_302600_NS4plusIfEEEEZZNS1_33reduce_by_key_impl_wrapped_configILNS1_25lookback_scan_determinismE0ES3_S9_NS6_6detail15normal_iteratorINS6_10device_ptrIiEEEENSD_INSE_IfEEEESG_SI_PmS8_NS6_8equal_toIiEEEE10hipError_tPvRmT2_T3_mT4_T5_T6_T7_T8_P12ihipStream_tbENKUlT_T0_E_clISt17integral_constantIbLb0EES12_IbLb1EEEEDaSY_SZ_EUlSY_E_NS1_11comp_targetILNS1_3genE2ELNS1_11target_archE906ELNS1_3gpuE6ELNS1_3repE0EEENS1_30default_config_static_selectorELNS0_4arch9wavefront6targetE0EEEvT1_.private_seg_size, 0
	.set _ZN7rocprim17ROCPRIM_400000_NS6detail17trampoline_kernelINS0_14default_configENS1_29reduce_by_key_config_selectorIifN6thrust23THRUST_200600_302600_NS4plusIfEEEEZZNS1_33reduce_by_key_impl_wrapped_configILNS1_25lookback_scan_determinismE0ES3_S9_NS6_6detail15normal_iteratorINS6_10device_ptrIiEEEENSD_INSE_IfEEEESG_SI_PmS8_NS6_8equal_toIiEEEE10hipError_tPvRmT2_T3_mT4_T5_T6_T7_T8_P12ihipStream_tbENKUlT_T0_E_clISt17integral_constantIbLb0EES12_IbLb1EEEEDaSY_SZ_EUlSY_E_NS1_11comp_targetILNS1_3genE2ELNS1_11target_archE906ELNS1_3gpuE6ELNS1_3repE0EEENS1_30default_config_static_selectorELNS0_4arch9wavefront6targetE0EEEvT1_.uses_vcc, 0
	.set _ZN7rocprim17ROCPRIM_400000_NS6detail17trampoline_kernelINS0_14default_configENS1_29reduce_by_key_config_selectorIifN6thrust23THRUST_200600_302600_NS4plusIfEEEEZZNS1_33reduce_by_key_impl_wrapped_configILNS1_25lookback_scan_determinismE0ES3_S9_NS6_6detail15normal_iteratorINS6_10device_ptrIiEEEENSD_INSE_IfEEEESG_SI_PmS8_NS6_8equal_toIiEEEE10hipError_tPvRmT2_T3_mT4_T5_T6_T7_T8_P12ihipStream_tbENKUlT_T0_E_clISt17integral_constantIbLb0EES12_IbLb1EEEEDaSY_SZ_EUlSY_E_NS1_11comp_targetILNS1_3genE2ELNS1_11target_archE906ELNS1_3gpuE6ELNS1_3repE0EEENS1_30default_config_static_selectorELNS0_4arch9wavefront6targetE0EEEvT1_.uses_flat_scratch, 0
	.set _ZN7rocprim17ROCPRIM_400000_NS6detail17trampoline_kernelINS0_14default_configENS1_29reduce_by_key_config_selectorIifN6thrust23THRUST_200600_302600_NS4plusIfEEEEZZNS1_33reduce_by_key_impl_wrapped_configILNS1_25lookback_scan_determinismE0ES3_S9_NS6_6detail15normal_iteratorINS6_10device_ptrIiEEEENSD_INSE_IfEEEESG_SI_PmS8_NS6_8equal_toIiEEEE10hipError_tPvRmT2_T3_mT4_T5_T6_T7_T8_P12ihipStream_tbENKUlT_T0_E_clISt17integral_constantIbLb0EES12_IbLb1EEEEDaSY_SZ_EUlSY_E_NS1_11comp_targetILNS1_3genE2ELNS1_11target_archE906ELNS1_3gpuE6ELNS1_3repE0EEENS1_30default_config_static_selectorELNS0_4arch9wavefront6targetE0EEEvT1_.has_dyn_sized_stack, 0
	.set _ZN7rocprim17ROCPRIM_400000_NS6detail17trampoline_kernelINS0_14default_configENS1_29reduce_by_key_config_selectorIifN6thrust23THRUST_200600_302600_NS4plusIfEEEEZZNS1_33reduce_by_key_impl_wrapped_configILNS1_25lookback_scan_determinismE0ES3_S9_NS6_6detail15normal_iteratorINS6_10device_ptrIiEEEENSD_INSE_IfEEEESG_SI_PmS8_NS6_8equal_toIiEEEE10hipError_tPvRmT2_T3_mT4_T5_T6_T7_T8_P12ihipStream_tbENKUlT_T0_E_clISt17integral_constantIbLb0EES12_IbLb1EEEEDaSY_SZ_EUlSY_E_NS1_11comp_targetILNS1_3genE2ELNS1_11target_archE906ELNS1_3gpuE6ELNS1_3repE0EEENS1_30default_config_static_selectorELNS0_4arch9wavefront6targetE0EEEvT1_.has_recursion, 0
	.set _ZN7rocprim17ROCPRIM_400000_NS6detail17trampoline_kernelINS0_14default_configENS1_29reduce_by_key_config_selectorIifN6thrust23THRUST_200600_302600_NS4plusIfEEEEZZNS1_33reduce_by_key_impl_wrapped_configILNS1_25lookback_scan_determinismE0ES3_S9_NS6_6detail15normal_iteratorINS6_10device_ptrIiEEEENSD_INSE_IfEEEESG_SI_PmS8_NS6_8equal_toIiEEEE10hipError_tPvRmT2_T3_mT4_T5_T6_T7_T8_P12ihipStream_tbENKUlT_T0_E_clISt17integral_constantIbLb0EES12_IbLb1EEEEDaSY_SZ_EUlSY_E_NS1_11comp_targetILNS1_3genE2ELNS1_11target_archE906ELNS1_3gpuE6ELNS1_3repE0EEENS1_30default_config_static_selectorELNS0_4arch9wavefront6targetE0EEEvT1_.has_indirect_call, 0
	.section	.AMDGPU.csdata,"",@progbits
; Kernel info:
; codeLenInByte = 0
; TotalNumSgprs: 0
; NumVgprs: 0
; ScratchSize: 0
; MemoryBound: 0
; FloatMode: 240
; IeeeMode: 1
; LDSByteSize: 0 bytes/workgroup (compile time only)
; SGPRBlocks: 0
; VGPRBlocks: 0
; NumSGPRsForWavesPerEU: 1
; NumVGPRsForWavesPerEU: 1
; Occupancy: 16
; WaveLimiterHint : 0
; COMPUTE_PGM_RSRC2:SCRATCH_EN: 0
; COMPUTE_PGM_RSRC2:USER_SGPR: 6
; COMPUTE_PGM_RSRC2:TRAP_HANDLER: 0
; COMPUTE_PGM_RSRC2:TGID_X_EN: 1
; COMPUTE_PGM_RSRC2:TGID_Y_EN: 0
; COMPUTE_PGM_RSRC2:TGID_Z_EN: 0
; COMPUTE_PGM_RSRC2:TIDIG_COMP_CNT: 0
	.section	.text._ZN7rocprim17ROCPRIM_400000_NS6detail17trampoline_kernelINS0_14default_configENS1_29reduce_by_key_config_selectorIifN6thrust23THRUST_200600_302600_NS4plusIfEEEEZZNS1_33reduce_by_key_impl_wrapped_configILNS1_25lookback_scan_determinismE0ES3_S9_NS6_6detail15normal_iteratorINS6_10device_ptrIiEEEENSD_INSE_IfEEEESG_SI_PmS8_NS6_8equal_toIiEEEE10hipError_tPvRmT2_T3_mT4_T5_T6_T7_T8_P12ihipStream_tbENKUlT_T0_E_clISt17integral_constantIbLb0EES12_IbLb1EEEEDaSY_SZ_EUlSY_E_NS1_11comp_targetILNS1_3genE10ELNS1_11target_archE1201ELNS1_3gpuE5ELNS1_3repE0EEENS1_30default_config_static_selectorELNS0_4arch9wavefront6targetE0EEEvT1_,"axG",@progbits,_ZN7rocprim17ROCPRIM_400000_NS6detail17trampoline_kernelINS0_14default_configENS1_29reduce_by_key_config_selectorIifN6thrust23THRUST_200600_302600_NS4plusIfEEEEZZNS1_33reduce_by_key_impl_wrapped_configILNS1_25lookback_scan_determinismE0ES3_S9_NS6_6detail15normal_iteratorINS6_10device_ptrIiEEEENSD_INSE_IfEEEESG_SI_PmS8_NS6_8equal_toIiEEEE10hipError_tPvRmT2_T3_mT4_T5_T6_T7_T8_P12ihipStream_tbENKUlT_T0_E_clISt17integral_constantIbLb0EES12_IbLb1EEEEDaSY_SZ_EUlSY_E_NS1_11comp_targetILNS1_3genE10ELNS1_11target_archE1201ELNS1_3gpuE5ELNS1_3repE0EEENS1_30default_config_static_selectorELNS0_4arch9wavefront6targetE0EEEvT1_,comdat
	.protected	_ZN7rocprim17ROCPRIM_400000_NS6detail17trampoline_kernelINS0_14default_configENS1_29reduce_by_key_config_selectorIifN6thrust23THRUST_200600_302600_NS4plusIfEEEEZZNS1_33reduce_by_key_impl_wrapped_configILNS1_25lookback_scan_determinismE0ES3_S9_NS6_6detail15normal_iteratorINS6_10device_ptrIiEEEENSD_INSE_IfEEEESG_SI_PmS8_NS6_8equal_toIiEEEE10hipError_tPvRmT2_T3_mT4_T5_T6_T7_T8_P12ihipStream_tbENKUlT_T0_E_clISt17integral_constantIbLb0EES12_IbLb1EEEEDaSY_SZ_EUlSY_E_NS1_11comp_targetILNS1_3genE10ELNS1_11target_archE1201ELNS1_3gpuE5ELNS1_3repE0EEENS1_30default_config_static_selectorELNS0_4arch9wavefront6targetE0EEEvT1_ ; -- Begin function _ZN7rocprim17ROCPRIM_400000_NS6detail17trampoline_kernelINS0_14default_configENS1_29reduce_by_key_config_selectorIifN6thrust23THRUST_200600_302600_NS4plusIfEEEEZZNS1_33reduce_by_key_impl_wrapped_configILNS1_25lookback_scan_determinismE0ES3_S9_NS6_6detail15normal_iteratorINS6_10device_ptrIiEEEENSD_INSE_IfEEEESG_SI_PmS8_NS6_8equal_toIiEEEE10hipError_tPvRmT2_T3_mT4_T5_T6_T7_T8_P12ihipStream_tbENKUlT_T0_E_clISt17integral_constantIbLb0EES12_IbLb1EEEEDaSY_SZ_EUlSY_E_NS1_11comp_targetILNS1_3genE10ELNS1_11target_archE1201ELNS1_3gpuE5ELNS1_3repE0EEENS1_30default_config_static_selectorELNS0_4arch9wavefront6targetE0EEEvT1_
	.globl	_ZN7rocprim17ROCPRIM_400000_NS6detail17trampoline_kernelINS0_14default_configENS1_29reduce_by_key_config_selectorIifN6thrust23THRUST_200600_302600_NS4plusIfEEEEZZNS1_33reduce_by_key_impl_wrapped_configILNS1_25lookback_scan_determinismE0ES3_S9_NS6_6detail15normal_iteratorINS6_10device_ptrIiEEEENSD_INSE_IfEEEESG_SI_PmS8_NS6_8equal_toIiEEEE10hipError_tPvRmT2_T3_mT4_T5_T6_T7_T8_P12ihipStream_tbENKUlT_T0_E_clISt17integral_constantIbLb0EES12_IbLb1EEEEDaSY_SZ_EUlSY_E_NS1_11comp_targetILNS1_3genE10ELNS1_11target_archE1201ELNS1_3gpuE5ELNS1_3repE0EEENS1_30default_config_static_selectorELNS0_4arch9wavefront6targetE0EEEvT1_
	.p2align	8
	.type	_ZN7rocprim17ROCPRIM_400000_NS6detail17trampoline_kernelINS0_14default_configENS1_29reduce_by_key_config_selectorIifN6thrust23THRUST_200600_302600_NS4plusIfEEEEZZNS1_33reduce_by_key_impl_wrapped_configILNS1_25lookback_scan_determinismE0ES3_S9_NS6_6detail15normal_iteratorINS6_10device_ptrIiEEEENSD_INSE_IfEEEESG_SI_PmS8_NS6_8equal_toIiEEEE10hipError_tPvRmT2_T3_mT4_T5_T6_T7_T8_P12ihipStream_tbENKUlT_T0_E_clISt17integral_constantIbLb0EES12_IbLb1EEEEDaSY_SZ_EUlSY_E_NS1_11comp_targetILNS1_3genE10ELNS1_11target_archE1201ELNS1_3gpuE5ELNS1_3repE0EEENS1_30default_config_static_selectorELNS0_4arch9wavefront6targetE0EEEvT1_,@function
_ZN7rocprim17ROCPRIM_400000_NS6detail17trampoline_kernelINS0_14default_configENS1_29reduce_by_key_config_selectorIifN6thrust23THRUST_200600_302600_NS4plusIfEEEEZZNS1_33reduce_by_key_impl_wrapped_configILNS1_25lookback_scan_determinismE0ES3_S9_NS6_6detail15normal_iteratorINS6_10device_ptrIiEEEENSD_INSE_IfEEEESG_SI_PmS8_NS6_8equal_toIiEEEE10hipError_tPvRmT2_T3_mT4_T5_T6_T7_T8_P12ihipStream_tbENKUlT_T0_E_clISt17integral_constantIbLb0EES12_IbLb1EEEEDaSY_SZ_EUlSY_E_NS1_11comp_targetILNS1_3genE10ELNS1_11target_archE1201ELNS1_3gpuE5ELNS1_3repE0EEENS1_30default_config_static_selectorELNS0_4arch9wavefront6targetE0EEEvT1_: ; @_ZN7rocprim17ROCPRIM_400000_NS6detail17trampoline_kernelINS0_14default_configENS1_29reduce_by_key_config_selectorIifN6thrust23THRUST_200600_302600_NS4plusIfEEEEZZNS1_33reduce_by_key_impl_wrapped_configILNS1_25lookback_scan_determinismE0ES3_S9_NS6_6detail15normal_iteratorINS6_10device_ptrIiEEEENSD_INSE_IfEEEESG_SI_PmS8_NS6_8equal_toIiEEEE10hipError_tPvRmT2_T3_mT4_T5_T6_T7_T8_P12ihipStream_tbENKUlT_T0_E_clISt17integral_constantIbLb0EES12_IbLb1EEEEDaSY_SZ_EUlSY_E_NS1_11comp_targetILNS1_3genE10ELNS1_11target_archE1201ELNS1_3gpuE5ELNS1_3repE0EEENS1_30default_config_static_selectorELNS0_4arch9wavefront6targetE0EEEvT1_
; %bb.0:
	.section	.rodata,"a",@progbits
	.p2align	6, 0x0
	.amdhsa_kernel _ZN7rocprim17ROCPRIM_400000_NS6detail17trampoline_kernelINS0_14default_configENS1_29reduce_by_key_config_selectorIifN6thrust23THRUST_200600_302600_NS4plusIfEEEEZZNS1_33reduce_by_key_impl_wrapped_configILNS1_25lookback_scan_determinismE0ES3_S9_NS6_6detail15normal_iteratorINS6_10device_ptrIiEEEENSD_INSE_IfEEEESG_SI_PmS8_NS6_8equal_toIiEEEE10hipError_tPvRmT2_T3_mT4_T5_T6_T7_T8_P12ihipStream_tbENKUlT_T0_E_clISt17integral_constantIbLb0EES12_IbLb1EEEEDaSY_SZ_EUlSY_E_NS1_11comp_targetILNS1_3genE10ELNS1_11target_archE1201ELNS1_3gpuE5ELNS1_3repE0EEENS1_30default_config_static_selectorELNS0_4arch9wavefront6targetE0EEEvT1_
		.amdhsa_group_segment_fixed_size 0
		.amdhsa_private_segment_fixed_size 0
		.amdhsa_kernarg_size 120
		.amdhsa_user_sgpr_count 6
		.amdhsa_user_sgpr_private_segment_buffer 1
		.amdhsa_user_sgpr_dispatch_ptr 0
		.amdhsa_user_sgpr_queue_ptr 0
		.amdhsa_user_sgpr_kernarg_segment_ptr 1
		.amdhsa_user_sgpr_dispatch_id 0
		.amdhsa_user_sgpr_flat_scratch_init 0
		.amdhsa_user_sgpr_private_segment_size 0
		.amdhsa_wavefront_size32 1
		.amdhsa_uses_dynamic_stack 0
		.amdhsa_system_sgpr_private_segment_wavefront_offset 0
		.amdhsa_system_sgpr_workgroup_id_x 1
		.amdhsa_system_sgpr_workgroup_id_y 0
		.amdhsa_system_sgpr_workgroup_id_z 0
		.amdhsa_system_sgpr_workgroup_info 0
		.amdhsa_system_vgpr_workitem_id 0
		.amdhsa_next_free_vgpr 1
		.amdhsa_next_free_sgpr 1
		.amdhsa_reserve_vcc 0
		.amdhsa_reserve_flat_scratch 0
		.amdhsa_float_round_mode_32 0
		.amdhsa_float_round_mode_16_64 0
		.amdhsa_float_denorm_mode_32 3
		.amdhsa_float_denorm_mode_16_64 3
		.amdhsa_dx10_clamp 1
		.amdhsa_ieee_mode 1
		.amdhsa_fp16_overflow 0
		.amdhsa_workgroup_processor_mode 1
		.amdhsa_memory_ordered 1
		.amdhsa_forward_progress 1
		.amdhsa_shared_vgpr_count 0
		.amdhsa_exception_fp_ieee_invalid_op 0
		.amdhsa_exception_fp_denorm_src 0
		.amdhsa_exception_fp_ieee_div_zero 0
		.amdhsa_exception_fp_ieee_overflow 0
		.amdhsa_exception_fp_ieee_underflow 0
		.amdhsa_exception_fp_ieee_inexact 0
		.amdhsa_exception_int_div_zero 0
	.end_amdhsa_kernel
	.section	.text._ZN7rocprim17ROCPRIM_400000_NS6detail17trampoline_kernelINS0_14default_configENS1_29reduce_by_key_config_selectorIifN6thrust23THRUST_200600_302600_NS4plusIfEEEEZZNS1_33reduce_by_key_impl_wrapped_configILNS1_25lookback_scan_determinismE0ES3_S9_NS6_6detail15normal_iteratorINS6_10device_ptrIiEEEENSD_INSE_IfEEEESG_SI_PmS8_NS6_8equal_toIiEEEE10hipError_tPvRmT2_T3_mT4_T5_T6_T7_T8_P12ihipStream_tbENKUlT_T0_E_clISt17integral_constantIbLb0EES12_IbLb1EEEEDaSY_SZ_EUlSY_E_NS1_11comp_targetILNS1_3genE10ELNS1_11target_archE1201ELNS1_3gpuE5ELNS1_3repE0EEENS1_30default_config_static_selectorELNS0_4arch9wavefront6targetE0EEEvT1_,"axG",@progbits,_ZN7rocprim17ROCPRIM_400000_NS6detail17trampoline_kernelINS0_14default_configENS1_29reduce_by_key_config_selectorIifN6thrust23THRUST_200600_302600_NS4plusIfEEEEZZNS1_33reduce_by_key_impl_wrapped_configILNS1_25lookback_scan_determinismE0ES3_S9_NS6_6detail15normal_iteratorINS6_10device_ptrIiEEEENSD_INSE_IfEEEESG_SI_PmS8_NS6_8equal_toIiEEEE10hipError_tPvRmT2_T3_mT4_T5_T6_T7_T8_P12ihipStream_tbENKUlT_T0_E_clISt17integral_constantIbLb0EES12_IbLb1EEEEDaSY_SZ_EUlSY_E_NS1_11comp_targetILNS1_3genE10ELNS1_11target_archE1201ELNS1_3gpuE5ELNS1_3repE0EEENS1_30default_config_static_selectorELNS0_4arch9wavefront6targetE0EEEvT1_,comdat
.Lfunc_end101:
	.size	_ZN7rocprim17ROCPRIM_400000_NS6detail17trampoline_kernelINS0_14default_configENS1_29reduce_by_key_config_selectorIifN6thrust23THRUST_200600_302600_NS4plusIfEEEEZZNS1_33reduce_by_key_impl_wrapped_configILNS1_25lookback_scan_determinismE0ES3_S9_NS6_6detail15normal_iteratorINS6_10device_ptrIiEEEENSD_INSE_IfEEEESG_SI_PmS8_NS6_8equal_toIiEEEE10hipError_tPvRmT2_T3_mT4_T5_T6_T7_T8_P12ihipStream_tbENKUlT_T0_E_clISt17integral_constantIbLb0EES12_IbLb1EEEEDaSY_SZ_EUlSY_E_NS1_11comp_targetILNS1_3genE10ELNS1_11target_archE1201ELNS1_3gpuE5ELNS1_3repE0EEENS1_30default_config_static_selectorELNS0_4arch9wavefront6targetE0EEEvT1_, .Lfunc_end101-_ZN7rocprim17ROCPRIM_400000_NS6detail17trampoline_kernelINS0_14default_configENS1_29reduce_by_key_config_selectorIifN6thrust23THRUST_200600_302600_NS4plusIfEEEEZZNS1_33reduce_by_key_impl_wrapped_configILNS1_25lookback_scan_determinismE0ES3_S9_NS6_6detail15normal_iteratorINS6_10device_ptrIiEEEENSD_INSE_IfEEEESG_SI_PmS8_NS6_8equal_toIiEEEE10hipError_tPvRmT2_T3_mT4_T5_T6_T7_T8_P12ihipStream_tbENKUlT_T0_E_clISt17integral_constantIbLb0EES12_IbLb1EEEEDaSY_SZ_EUlSY_E_NS1_11comp_targetILNS1_3genE10ELNS1_11target_archE1201ELNS1_3gpuE5ELNS1_3repE0EEENS1_30default_config_static_selectorELNS0_4arch9wavefront6targetE0EEEvT1_
                                        ; -- End function
	.set _ZN7rocprim17ROCPRIM_400000_NS6detail17trampoline_kernelINS0_14default_configENS1_29reduce_by_key_config_selectorIifN6thrust23THRUST_200600_302600_NS4plusIfEEEEZZNS1_33reduce_by_key_impl_wrapped_configILNS1_25lookback_scan_determinismE0ES3_S9_NS6_6detail15normal_iteratorINS6_10device_ptrIiEEEENSD_INSE_IfEEEESG_SI_PmS8_NS6_8equal_toIiEEEE10hipError_tPvRmT2_T3_mT4_T5_T6_T7_T8_P12ihipStream_tbENKUlT_T0_E_clISt17integral_constantIbLb0EES12_IbLb1EEEEDaSY_SZ_EUlSY_E_NS1_11comp_targetILNS1_3genE10ELNS1_11target_archE1201ELNS1_3gpuE5ELNS1_3repE0EEENS1_30default_config_static_selectorELNS0_4arch9wavefront6targetE0EEEvT1_.num_vgpr, 0
	.set _ZN7rocprim17ROCPRIM_400000_NS6detail17trampoline_kernelINS0_14default_configENS1_29reduce_by_key_config_selectorIifN6thrust23THRUST_200600_302600_NS4plusIfEEEEZZNS1_33reduce_by_key_impl_wrapped_configILNS1_25lookback_scan_determinismE0ES3_S9_NS6_6detail15normal_iteratorINS6_10device_ptrIiEEEENSD_INSE_IfEEEESG_SI_PmS8_NS6_8equal_toIiEEEE10hipError_tPvRmT2_T3_mT4_T5_T6_T7_T8_P12ihipStream_tbENKUlT_T0_E_clISt17integral_constantIbLb0EES12_IbLb1EEEEDaSY_SZ_EUlSY_E_NS1_11comp_targetILNS1_3genE10ELNS1_11target_archE1201ELNS1_3gpuE5ELNS1_3repE0EEENS1_30default_config_static_selectorELNS0_4arch9wavefront6targetE0EEEvT1_.num_agpr, 0
	.set _ZN7rocprim17ROCPRIM_400000_NS6detail17trampoline_kernelINS0_14default_configENS1_29reduce_by_key_config_selectorIifN6thrust23THRUST_200600_302600_NS4plusIfEEEEZZNS1_33reduce_by_key_impl_wrapped_configILNS1_25lookback_scan_determinismE0ES3_S9_NS6_6detail15normal_iteratorINS6_10device_ptrIiEEEENSD_INSE_IfEEEESG_SI_PmS8_NS6_8equal_toIiEEEE10hipError_tPvRmT2_T3_mT4_T5_T6_T7_T8_P12ihipStream_tbENKUlT_T0_E_clISt17integral_constantIbLb0EES12_IbLb1EEEEDaSY_SZ_EUlSY_E_NS1_11comp_targetILNS1_3genE10ELNS1_11target_archE1201ELNS1_3gpuE5ELNS1_3repE0EEENS1_30default_config_static_selectorELNS0_4arch9wavefront6targetE0EEEvT1_.numbered_sgpr, 0
	.set _ZN7rocprim17ROCPRIM_400000_NS6detail17trampoline_kernelINS0_14default_configENS1_29reduce_by_key_config_selectorIifN6thrust23THRUST_200600_302600_NS4plusIfEEEEZZNS1_33reduce_by_key_impl_wrapped_configILNS1_25lookback_scan_determinismE0ES3_S9_NS6_6detail15normal_iteratorINS6_10device_ptrIiEEEENSD_INSE_IfEEEESG_SI_PmS8_NS6_8equal_toIiEEEE10hipError_tPvRmT2_T3_mT4_T5_T6_T7_T8_P12ihipStream_tbENKUlT_T0_E_clISt17integral_constantIbLb0EES12_IbLb1EEEEDaSY_SZ_EUlSY_E_NS1_11comp_targetILNS1_3genE10ELNS1_11target_archE1201ELNS1_3gpuE5ELNS1_3repE0EEENS1_30default_config_static_selectorELNS0_4arch9wavefront6targetE0EEEvT1_.num_named_barrier, 0
	.set _ZN7rocprim17ROCPRIM_400000_NS6detail17trampoline_kernelINS0_14default_configENS1_29reduce_by_key_config_selectorIifN6thrust23THRUST_200600_302600_NS4plusIfEEEEZZNS1_33reduce_by_key_impl_wrapped_configILNS1_25lookback_scan_determinismE0ES3_S9_NS6_6detail15normal_iteratorINS6_10device_ptrIiEEEENSD_INSE_IfEEEESG_SI_PmS8_NS6_8equal_toIiEEEE10hipError_tPvRmT2_T3_mT4_T5_T6_T7_T8_P12ihipStream_tbENKUlT_T0_E_clISt17integral_constantIbLb0EES12_IbLb1EEEEDaSY_SZ_EUlSY_E_NS1_11comp_targetILNS1_3genE10ELNS1_11target_archE1201ELNS1_3gpuE5ELNS1_3repE0EEENS1_30default_config_static_selectorELNS0_4arch9wavefront6targetE0EEEvT1_.private_seg_size, 0
	.set _ZN7rocprim17ROCPRIM_400000_NS6detail17trampoline_kernelINS0_14default_configENS1_29reduce_by_key_config_selectorIifN6thrust23THRUST_200600_302600_NS4plusIfEEEEZZNS1_33reduce_by_key_impl_wrapped_configILNS1_25lookback_scan_determinismE0ES3_S9_NS6_6detail15normal_iteratorINS6_10device_ptrIiEEEENSD_INSE_IfEEEESG_SI_PmS8_NS6_8equal_toIiEEEE10hipError_tPvRmT2_T3_mT4_T5_T6_T7_T8_P12ihipStream_tbENKUlT_T0_E_clISt17integral_constantIbLb0EES12_IbLb1EEEEDaSY_SZ_EUlSY_E_NS1_11comp_targetILNS1_3genE10ELNS1_11target_archE1201ELNS1_3gpuE5ELNS1_3repE0EEENS1_30default_config_static_selectorELNS0_4arch9wavefront6targetE0EEEvT1_.uses_vcc, 0
	.set _ZN7rocprim17ROCPRIM_400000_NS6detail17trampoline_kernelINS0_14default_configENS1_29reduce_by_key_config_selectorIifN6thrust23THRUST_200600_302600_NS4plusIfEEEEZZNS1_33reduce_by_key_impl_wrapped_configILNS1_25lookback_scan_determinismE0ES3_S9_NS6_6detail15normal_iteratorINS6_10device_ptrIiEEEENSD_INSE_IfEEEESG_SI_PmS8_NS6_8equal_toIiEEEE10hipError_tPvRmT2_T3_mT4_T5_T6_T7_T8_P12ihipStream_tbENKUlT_T0_E_clISt17integral_constantIbLb0EES12_IbLb1EEEEDaSY_SZ_EUlSY_E_NS1_11comp_targetILNS1_3genE10ELNS1_11target_archE1201ELNS1_3gpuE5ELNS1_3repE0EEENS1_30default_config_static_selectorELNS0_4arch9wavefront6targetE0EEEvT1_.uses_flat_scratch, 0
	.set _ZN7rocprim17ROCPRIM_400000_NS6detail17trampoline_kernelINS0_14default_configENS1_29reduce_by_key_config_selectorIifN6thrust23THRUST_200600_302600_NS4plusIfEEEEZZNS1_33reduce_by_key_impl_wrapped_configILNS1_25lookback_scan_determinismE0ES3_S9_NS6_6detail15normal_iteratorINS6_10device_ptrIiEEEENSD_INSE_IfEEEESG_SI_PmS8_NS6_8equal_toIiEEEE10hipError_tPvRmT2_T3_mT4_T5_T6_T7_T8_P12ihipStream_tbENKUlT_T0_E_clISt17integral_constantIbLb0EES12_IbLb1EEEEDaSY_SZ_EUlSY_E_NS1_11comp_targetILNS1_3genE10ELNS1_11target_archE1201ELNS1_3gpuE5ELNS1_3repE0EEENS1_30default_config_static_selectorELNS0_4arch9wavefront6targetE0EEEvT1_.has_dyn_sized_stack, 0
	.set _ZN7rocprim17ROCPRIM_400000_NS6detail17trampoline_kernelINS0_14default_configENS1_29reduce_by_key_config_selectorIifN6thrust23THRUST_200600_302600_NS4plusIfEEEEZZNS1_33reduce_by_key_impl_wrapped_configILNS1_25lookback_scan_determinismE0ES3_S9_NS6_6detail15normal_iteratorINS6_10device_ptrIiEEEENSD_INSE_IfEEEESG_SI_PmS8_NS6_8equal_toIiEEEE10hipError_tPvRmT2_T3_mT4_T5_T6_T7_T8_P12ihipStream_tbENKUlT_T0_E_clISt17integral_constantIbLb0EES12_IbLb1EEEEDaSY_SZ_EUlSY_E_NS1_11comp_targetILNS1_3genE10ELNS1_11target_archE1201ELNS1_3gpuE5ELNS1_3repE0EEENS1_30default_config_static_selectorELNS0_4arch9wavefront6targetE0EEEvT1_.has_recursion, 0
	.set _ZN7rocprim17ROCPRIM_400000_NS6detail17trampoline_kernelINS0_14default_configENS1_29reduce_by_key_config_selectorIifN6thrust23THRUST_200600_302600_NS4plusIfEEEEZZNS1_33reduce_by_key_impl_wrapped_configILNS1_25lookback_scan_determinismE0ES3_S9_NS6_6detail15normal_iteratorINS6_10device_ptrIiEEEENSD_INSE_IfEEEESG_SI_PmS8_NS6_8equal_toIiEEEE10hipError_tPvRmT2_T3_mT4_T5_T6_T7_T8_P12ihipStream_tbENKUlT_T0_E_clISt17integral_constantIbLb0EES12_IbLb1EEEEDaSY_SZ_EUlSY_E_NS1_11comp_targetILNS1_3genE10ELNS1_11target_archE1201ELNS1_3gpuE5ELNS1_3repE0EEENS1_30default_config_static_selectorELNS0_4arch9wavefront6targetE0EEEvT1_.has_indirect_call, 0
	.section	.AMDGPU.csdata,"",@progbits
; Kernel info:
; codeLenInByte = 0
; TotalNumSgprs: 0
; NumVgprs: 0
; ScratchSize: 0
; MemoryBound: 0
; FloatMode: 240
; IeeeMode: 1
; LDSByteSize: 0 bytes/workgroup (compile time only)
; SGPRBlocks: 0
; VGPRBlocks: 0
; NumSGPRsForWavesPerEU: 1
; NumVGPRsForWavesPerEU: 1
; Occupancy: 16
; WaveLimiterHint : 0
; COMPUTE_PGM_RSRC2:SCRATCH_EN: 0
; COMPUTE_PGM_RSRC2:USER_SGPR: 6
; COMPUTE_PGM_RSRC2:TRAP_HANDLER: 0
; COMPUTE_PGM_RSRC2:TGID_X_EN: 1
; COMPUTE_PGM_RSRC2:TGID_Y_EN: 0
; COMPUTE_PGM_RSRC2:TGID_Z_EN: 0
; COMPUTE_PGM_RSRC2:TIDIG_COMP_CNT: 0
	.section	.text._ZN7rocprim17ROCPRIM_400000_NS6detail17trampoline_kernelINS0_14default_configENS1_29reduce_by_key_config_selectorIifN6thrust23THRUST_200600_302600_NS4plusIfEEEEZZNS1_33reduce_by_key_impl_wrapped_configILNS1_25lookback_scan_determinismE0ES3_S9_NS6_6detail15normal_iteratorINS6_10device_ptrIiEEEENSD_INSE_IfEEEESG_SI_PmS8_NS6_8equal_toIiEEEE10hipError_tPvRmT2_T3_mT4_T5_T6_T7_T8_P12ihipStream_tbENKUlT_T0_E_clISt17integral_constantIbLb0EES12_IbLb1EEEEDaSY_SZ_EUlSY_E_NS1_11comp_targetILNS1_3genE10ELNS1_11target_archE1200ELNS1_3gpuE4ELNS1_3repE0EEENS1_30default_config_static_selectorELNS0_4arch9wavefront6targetE0EEEvT1_,"axG",@progbits,_ZN7rocprim17ROCPRIM_400000_NS6detail17trampoline_kernelINS0_14default_configENS1_29reduce_by_key_config_selectorIifN6thrust23THRUST_200600_302600_NS4plusIfEEEEZZNS1_33reduce_by_key_impl_wrapped_configILNS1_25lookback_scan_determinismE0ES3_S9_NS6_6detail15normal_iteratorINS6_10device_ptrIiEEEENSD_INSE_IfEEEESG_SI_PmS8_NS6_8equal_toIiEEEE10hipError_tPvRmT2_T3_mT4_T5_T6_T7_T8_P12ihipStream_tbENKUlT_T0_E_clISt17integral_constantIbLb0EES12_IbLb1EEEEDaSY_SZ_EUlSY_E_NS1_11comp_targetILNS1_3genE10ELNS1_11target_archE1200ELNS1_3gpuE4ELNS1_3repE0EEENS1_30default_config_static_selectorELNS0_4arch9wavefront6targetE0EEEvT1_,comdat
	.protected	_ZN7rocprim17ROCPRIM_400000_NS6detail17trampoline_kernelINS0_14default_configENS1_29reduce_by_key_config_selectorIifN6thrust23THRUST_200600_302600_NS4plusIfEEEEZZNS1_33reduce_by_key_impl_wrapped_configILNS1_25lookback_scan_determinismE0ES3_S9_NS6_6detail15normal_iteratorINS6_10device_ptrIiEEEENSD_INSE_IfEEEESG_SI_PmS8_NS6_8equal_toIiEEEE10hipError_tPvRmT2_T3_mT4_T5_T6_T7_T8_P12ihipStream_tbENKUlT_T0_E_clISt17integral_constantIbLb0EES12_IbLb1EEEEDaSY_SZ_EUlSY_E_NS1_11comp_targetILNS1_3genE10ELNS1_11target_archE1200ELNS1_3gpuE4ELNS1_3repE0EEENS1_30default_config_static_selectorELNS0_4arch9wavefront6targetE0EEEvT1_ ; -- Begin function _ZN7rocprim17ROCPRIM_400000_NS6detail17trampoline_kernelINS0_14default_configENS1_29reduce_by_key_config_selectorIifN6thrust23THRUST_200600_302600_NS4plusIfEEEEZZNS1_33reduce_by_key_impl_wrapped_configILNS1_25lookback_scan_determinismE0ES3_S9_NS6_6detail15normal_iteratorINS6_10device_ptrIiEEEENSD_INSE_IfEEEESG_SI_PmS8_NS6_8equal_toIiEEEE10hipError_tPvRmT2_T3_mT4_T5_T6_T7_T8_P12ihipStream_tbENKUlT_T0_E_clISt17integral_constantIbLb0EES12_IbLb1EEEEDaSY_SZ_EUlSY_E_NS1_11comp_targetILNS1_3genE10ELNS1_11target_archE1200ELNS1_3gpuE4ELNS1_3repE0EEENS1_30default_config_static_selectorELNS0_4arch9wavefront6targetE0EEEvT1_
	.globl	_ZN7rocprim17ROCPRIM_400000_NS6detail17trampoline_kernelINS0_14default_configENS1_29reduce_by_key_config_selectorIifN6thrust23THRUST_200600_302600_NS4plusIfEEEEZZNS1_33reduce_by_key_impl_wrapped_configILNS1_25lookback_scan_determinismE0ES3_S9_NS6_6detail15normal_iteratorINS6_10device_ptrIiEEEENSD_INSE_IfEEEESG_SI_PmS8_NS6_8equal_toIiEEEE10hipError_tPvRmT2_T3_mT4_T5_T6_T7_T8_P12ihipStream_tbENKUlT_T0_E_clISt17integral_constantIbLb0EES12_IbLb1EEEEDaSY_SZ_EUlSY_E_NS1_11comp_targetILNS1_3genE10ELNS1_11target_archE1200ELNS1_3gpuE4ELNS1_3repE0EEENS1_30default_config_static_selectorELNS0_4arch9wavefront6targetE0EEEvT1_
	.p2align	8
	.type	_ZN7rocprim17ROCPRIM_400000_NS6detail17trampoline_kernelINS0_14default_configENS1_29reduce_by_key_config_selectorIifN6thrust23THRUST_200600_302600_NS4plusIfEEEEZZNS1_33reduce_by_key_impl_wrapped_configILNS1_25lookback_scan_determinismE0ES3_S9_NS6_6detail15normal_iteratorINS6_10device_ptrIiEEEENSD_INSE_IfEEEESG_SI_PmS8_NS6_8equal_toIiEEEE10hipError_tPvRmT2_T3_mT4_T5_T6_T7_T8_P12ihipStream_tbENKUlT_T0_E_clISt17integral_constantIbLb0EES12_IbLb1EEEEDaSY_SZ_EUlSY_E_NS1_11comp_targetILNS1_3genE10ELNS1_11target_archE1200ELNS1_3gpuE4ELNS1_3repE0EEENS1_30default_config_static_selectorELNS0_4arch9wavefront6targetE0EEEvT1_,@function
_ZN7rocprim17ROCPRIM_400000_NS6detail17trampoline_kernelINS0_14default_configENS1_29reduce_by_key_config_selectorIifN6thrust23THRUST_200600_302600_NS4plusIfEEEEZZNS1_33reduce_by_key_impl_wrapped_configILNS1_25lookback_scan_determinismE0ES3_S9_NS6_6detail15normal_iteratorINS6_10device_ptrIiEEEENSD_INSE_IfEEEESG_SI_PmS8_NS6_8equal_toIiEEEE10hipError_tPvRmT2_T3_mT4_T5_T6_T7_T8_P12ihipStream_tbENKUlT_T0_E_clISt17integral_constantIbLb0EES12_IbLb1EEEEDaSY_SZ_EUlSY_E_NS1_11comp_targetILNS1_3genE10ELNS1_11target_archE1200ELNS1_3gpuE4ELNS1_3repE0EEENS1_30default_config_static_selectorELNS0_4arch9wavefront6targetE0EEEvT1_: ; @_ZN7rocprim17ROCPRIM_400000_NS6detail17trampoline_kernelINS0_14default_configENS1_29reduce_by_key_config_selectorIifN6thrust23THRUST_200600_302600_NS4plusIfEEEEZZNS1_33reduce_by_key_impl_wrapped_configILNS1_25lookback_scan_determinismE0ES3_S9_NS6_6detail15normal_iteratorINS6_10device_ptrIiEEEENSD_INSE_IfEEEESG_SI_PmS8_NS6_8equal_toIiEEEE10hipError_tPvRmT2_T3_mT4_T5_T6_T7_T8_P12ihipStream_tbENKUlT_T0_E_clISt17integral_constantIbLb0EES12_IbLb1EEEEDaSY_SZ_EUlSY_E_NS1_11comp_targetILNS1_3genE10ELNS1_11target_archE1200ELNS1_3gpuE4ELNS1_3repE0EEENS1_30default_config_static_selectorELNS0_4arch9wavefront6targetE0EEEvT1_
; %bb.0:
	.section	.rodata,"a",@progbits
	.p2align	6, 0x0
	.amdhsa_kernel _ZN7rocprim17ROCPRIM_400000_NS6detail17trampoline_kernelINS0_14default_configENS1_29reduce_by_key_config_selectorIifN6thrust23THRUST_200600_302600_NS4plusIfEEEEZZNS1_33reduce_by_key_impl_wrapped_configILNS1_25lookback_scan_determinismE0ES3_S9_NS6_6detail15normal_iteratorINS6_10device_ptrIiEEEENSD_INSE_IfEEEESG_SI_PmS8_NS6_8equal_toIiEEEE10hipError_tPvRmT2_T3_mT4_T5_T6_T7_T8_P12ihipStream_tbENKUlT_T0_E_clISt17integral_constantIbLb0EES12_IbLb1EEEEDaSY_SZ_EUlSY_E_NS1_11comp_targetILNS1_3genE10ELNS1_11target_archE1200ELNS1_3gpuE4ELNS1_3repE0EEENS1_30default_config_static_selectorELNS0_4arch9wavefront6targetE0EEEvT1_
		.amdhsa_group_segment_fixed_size 0
		.amdhsa_private_segment_fixed_size 0
		.amdhsa_kernarg_size 120
		.amdhsa_user_sgpr_count 6
		.amdhsa_user_sgpr_private_segment_buffer 1
		.amdhsa_user_sgpr_dispatch_ptr 0
		.amdhsa_user_sgpr_queue_ptr 0
		.amdhsa_user_sgpr_kernarg_segment_ptr 1
		.amdhsa_user_sgpr_dispatch_id 0
		.amdhsa_user_sgpr_flat_scratch_init 0
		.amdhsa_user_sgpr_private_segment_size 0
		.amdhsa_wavefront_size32 1
		.amdhsa_uses_dynamic_stack 0
		.amdhsa_system_sgpr_private_segment_wavefront_offset 0
		.amdhsa_system_sgpr_workgroup_id_x 1
		.amdhsa_system_sgpr_workgroup_id_y 0
		.amdhsa_system_sgpr_workgroup_id_z 0
		.amdhsa_system_sgpr_workgroup_info 0
		.amdhsa_system_vgpr_workitem_id 0
		.amdhsa_next_free_vgpr 1
		.amdhsa_next_free_sgpr 1
		.amdhsa_reserve_vcc 0
		.amdhsa_reserve_flat_scratch 0
		.amdhsa_float_round_mode_32 0
		.amdhsa_float_round_mode_16_64 0
		.amdhsa_float_denorm_mode_32 3
		.amdhsa_float_denorm_mode_16_64 3
		.amdhsa_dx10_clamp 1
		.amdhsa_ieee_mode 1
		.amdhsa_fp16_overflow 0
		.amdhsa_workgroup_processor_mode 1
		.amdhsa_memory_ordered 1
		.amdhsa_forward_progress 1
		.amdhsa_shared_vgpr_count 0
		.amdhsa_exception_fp_ieee_invalid_op 0
		.amdhsa_exception_fp_denorm_src 0
		.amdhsa_exception_fp_ieee_div_zero 0
		.amdhsa_exception_fp_ieee_overflow 0
		.amdhsa_exception_fp_ieee_underflow 0
		.amdhsa_exception_fp_ieee_inexact 0
		.amdhsa_exception_int_div_zero 0
	.end_amdhsa_kernel
	.section	.text._ZN7rocprim17ROCPRIM_400000_NS6detail17trampoline_kernelINS0_14default_configENS1_29reduce_by_key_config_selectorIifN6thrust23THRUST_200600_302600_NS4plusIfEEEEZZNS1_33reduce_by_key_impl_wrapped_configILNS1_25lookback_scan_determinismE0ES3_S9_NS6_6detail15normal_iteratorINS6_10device_ptrIiEEEENSD_INSE_IfEEEESG_SI_PmS8_NS6_8equal_toIiEEEE10hipError_tPvRmT2_T3_mT4_T5_T6_T7_T8_P12ihipStream_tbENKUlT_T0_E_clISt17integral_constantIbLb0EES12_IbLb1EEEEDaSY_SZ_EUlSY_E_NS1_11comp_targetILNS1_3genE10ELNS1_11target_archE1200ELNS1_3gpuE4ELNS1_3repE0EEENS1_30default_config_static_selectorELNS0_4arch9wavefront6targetE0EEEvT1_,"axG",@progbits,_ZN7rocprim17ROCPRIM_400000_NS6detail17trampoline_kernelINS0_14default_configENS1_29reduce_by_key_config_selectorIifN6thrust23THRUST_200600_302600_NS4plusIfEEEEZZNS1_33reduce_by_key_impl_wrapped_configILNS1_25lookback_scan_determinismE0ES3_S9_NS6_6detail15normal_iteratorINS6_10device_ptrIiEEEENSD_INSE_IfEEEESG_SI_PmS8_NS6_8equal_toIiEEEE10hipError_tPvRmT2_T3_mT4_T5_T6_T7_T8_P12ihipStream_tbENKUlT_T0_E_clISt17integral_constantIbLb0EES12_IbLb1EEEEDaSY_SZ_EUlSY_E_NS1_11comp_targetILNS1_3genE10ELNS1_11target_archE1200ELNS1_3gpuE4ELNS1_3repE0EEENS1_30default_config_static_selectorELNS0_4arch9wavefront6targetE0EEEvT1_,comdat
.Lfunc_end102:
	.size	_ZN7rocprim17ROCPRIM_400000_NS6detail17trampoline_kernelINS0_14default_configENS1_29reduce_by_key_config_selectorIifN6thrust23THRUST_200600_302600_NS4plusIfEEEEZZNS1_33reduce_by_key_impl_wrapped_configILNS1_25lookback_scan_determinismE0ES3_S9_NS6_6detail15normal_iteratorINS6_10device_ptrIiEEEENSD_INSE_IfEEEESG_SI_PmS8_NS6_8equal_toIiEEEE10hipError_tPvRmT2_T3_mT4_T5_T6_T7_T8_P12ihipStream_tbENKUlT_T0_E_clISt17integral_constantIbLb0EES12_IbLb1EEEEDaSY_SZ_EUlSY_E_NS1_11comp_targetILNS1_3genE10ELNS1_11target_archE1200ELNS1_3gpuE4ELNS1_3repE0EEENS1_30default_config_static_selectorELNS0_4arch9wavefront6targetE0EEEvT1_, .Lfunc_end102-_ZN7rocprim17ROCPRIM_400000_NS6detail17trampoline_kernelINS0_14default_configENS1_29reduce_by_key_config_selectorIifN6thrust23THRUST_200600_302600_NS4plusIfEEEEZZNS1_33reduce_by_key_impl_wrapped_configILNS1_25lookback_scan_determinismE0ES3_S9_NS6_6detail15normal_iteratorINS6_10device_ptrIiEEEENSD_INSE_IfEEEESG_SI_PmS8_NS6_8equal_toIiEEEE10hipError_tPvRmT2_T3_mT4_T5_T6_T7_T8_P12ihipStream_tbENKUlT_T0_E_clISt17integral_constantIbLb0EES12_IbLb1EEEEDaSY_SZ_EUlSY_E_NS1_11comp_targetILNS1_3genE10ELNS1_11target_archE1200ELNS1_3gpuE4ELNS1_3repE0EEENS1_30default_config_static_selectorELNS0_4arch9wavefront6targetE0EEEvT1_
                                        ; -- End function
	.set _ZN7rocprim17ROCPRIM_400000_NS6detail17trampoline_kernelINS0_14default_configENS1_29reduce_by_key_config_selectorIifN6thrust23THRUST_200600_302600_NS4plusIfEEEEZZNS1_33reduce_by_key_impl_wrapped_configILNS1_25lookback_scan_determinismE0ES3_S9_NS6_6detail15normal_iteratorINS6_10device_ptrIiEEEENSD_INSE_IfEEEESG_SI_PmS8_NS6_8equal_toIiEEEE10hipError_tPvRmT2_T3_mT4_T5_T6_T7_T8_P12ihipStream_tbENKUlT_T0_E_clISt17integral_constantIbLb0EES12_IbLb1EEEEDaSY_SZ_EUlSY_E_NS1_11comp_targetILNS1_3genE10ELNS1_11target_archE1200ELNS1_3gpuE4ELNS1_3repE0EEENS1_30default_config_static_selectorELNS0_4arch9wavefront6targetE0EEEvT1_.num_vgpr, 0
	.set _ZN7rocprim17ROCPRIM_400000_NS6detail17trampoline_kernelINS0_14default_configENS1_29reduce_by_key_config_selectorIifN6thrust23THRUST_200600_302600_NS4plusIfEEEEZZNS1_33reduce_by_key_impl_wrapped_configILNS1_25lookback_scan_determinismE0ES3_S9_NS6_6detail15normal_iteratorINS6_10device_ptrIiEEEENSD_INSE_IfEEEESG_SI_PmS8_NS6_8equal_toIiEEEE10hipError_tPvRmT2_T3_mT4_T5_T6_T7_T8_P12ihipStream_tbENKUlT_T0_E_clISt17integral_constantIbLb0EES12_IbLb1EEEEDaSY_SZ_EUlSY_E_NS1_11comp_targetILNS1_3genE10ELNS1_11target_archE1200ELNS1_3gpuE4ELNS1_3repE0EEENS1_30default_config_static_selectorELNS0_4arch9wavefront6targetE0EEEvT1_.num_agpr, 0
	.set _ZN7rocprim17ROCPRIM_400000_NS6detail17trampoline_kernelINS0_14default_configENS1_29reduce_by_key_config_selectorIifN6thrust23THRUST_200600_302600_NS4plusIfEEEEZZNS1_33reduce_by_key_impl_wrapped_configILNS1_25lookback_scan_determinismE0ES3_S9_NS6_6detail15normal_iteratorINS6_10device_ptrIiEEEENSD_INSE_IfEEEESG_SI_PmS8_NS6_8equal_toIiEEEE10hipError_tPvRmT2_T3_mT4_T5_T6_T7_T8_P12ihipStream_tbENKUlT_T0_E_clISt17integral_constantIbLb0EES12_IbLb1EEEEDaSY_SZ_EUlSY_E_NS1_11comp_targetILNS1_3genE10ELNS1_11target_archE1200ELNS1_3gpuE4ELNS1_3repE0EEENS1_30default_config_static_selectorELNS0_4arch9wavefront6targetE0EEEvT1_.numbered_sgpr, 0
	.set _ZN7rocprim17ROCPRIM_400000_NS6detail17trampoline_kernelINS0_14default_configENS1_29reduce_by_key_config_selectorIifN6thrust23THRUST_200600_302600_NS4plusIfEEEEZZNS1_33reduce_by_key_impl_wrapped_configILNS1_25lookback_scan_determinismE0ES3_S9_NS6_6detail15normal_iteratorINS6_10device_ptrIiEEEENSD_INSE_IfEEEESG_SI_PmS8_NS6_8equal_toIiEEEE10hipError_tPvRmT2_T3_mT4_T5_T6_T7_T8_P12ihipStream_tbENKUlT_T0_E_clISt17integral_constantIbLb0EES12_IbLb1EEEEDaSY_SZ_EUlSY_E_NS1_11comp_targetILNS1_3genE10ELNS1_11target_archE1200ELNS1_3gpuE4ELNS1_3repE0EEENS1_30default_config_static_selectorELNS0_4arch9wavefront6targetE0EEEvT1_.num_named_barrier, 0
	.set _ZN7rocprim17ROCPRIM_400000_NS6detail17trampoline_kernelINS0_14default_configENS1_29reduce_by_key_config_selectorIifN6thrust23THRUST_200600_302600_NS4plusIfEEEEZZNS1_33reduce_by_key_impl_wrapped_configILNS1_25lookback_scan_determinismE0ES3_S9_NS6_6detail15normal_iteratorINS6_10device_ptrIiEEEENSD_INSE_IfEEEESG_SI_PmS8_NS6_8equal_toIiEEEE10hipError_tPvRmT2_T3_mT4_T5_T6_T7_T8_P12ihipStream_tbENKUlT_T0_E_clISt17integral_constantIbLb0EES12_IbLb1EEEEDaSY_SZ_EUlSY_E_NS1_11comp_targetILNS1_3genE10ELNS1_11target_archE1200ELNS1_3gpuE4ELNS1_3repE0EEENS1_30default_config_static_selectorELNS0_4arch9wavefront6targetE0EEEvT1_.private_seg_size, 0
	.set _ZN7rocprim17ROCPRIM_400000_NS6detail17trampoline_kernelINS0_14default_configENS1_29reduce_by_key_config_selectorIifN6thrust23THRUST_200600_302600_NS4plusIfEEEEZZNS1_33reduce_by_key_impl_wrapped_configILNS1_25lookback_scan_determinismE0ES3_S9_NS6_6detail15normal_iteratorINS6_10device_ptrIiEEEENSD_INSE_IfEEEESG_SI_PmS8_NS6_8equal_toIiEEEE10hipError_tPvRmT2_T3_mT4_T5_T6_T7_T8_P12ihipStream_tbENKUlT_T0_E_clISt17integral_constantIbLb0EES12_IbLb1EEEEDaSY_SZ_EUlSY_E_NS1_11comp_targetILNS1_3genE10ELNS1_11target_archE1200ELNS1_3gpuE4ELNS1_3repE0EEENS1_30default_config_static_selectorELNS0_4arch9wavefront6targetE0EEEvT1_.uses_vcc, 0
	.set _ZN7rocprim17ROCPRIM_400000_NS6detail17trampoline_kernelINS0_14default_configENS1_29reduce_by_key_config_selectorIifN6thrust23THRUST_200600_302600_NS4plusIfEEEEZZNS1_33reduce_by_key_impl_wrapped_configILNS1_25lookback_scan_determinismE0ES3_S9_NS6_6detail15normal_iteratorINS6_10device_ptrIiEEEENSD_INSE_IfEEEESG_SI_PmS8_NS6_8equal_toIiEEEE10hipError_tPvRmT2_T3_mT4_T5_T6_T7_T8_P12ihipStream_tbENKUlT_T0_E_clISt17integral_constantIbLb0EES12_IbLb1EEEEDaSY_SZ_EUlSY_E_NS1_11comp_targetILNS1_3genE10ELNS1_11target_archE1200ELNS1_3gpuE4ELNS1_3repE0EEENS1_30default_config_static_selectorELNS0_4arch9wavefront6targetE0EEEvT1_.uses_flat_scratch, 0
	.set _ZN7rocprim17ROCPRIM_400000_NS6detail17trampoline_kernelINS0_14default_configENS1_29reduce_by_key_config_selectorIifN6thrust23THRUST_200600_302600_NS4plusIfEEEEZZNS1_33reduce_by_key_impl_wrapped_configILNS1_25lookback_scan_determinismE0ES3_S9_NS6_6detail15normal_iteratorINS6_10device_ptrIiEEEENSD_INSE_IfEEEESG_SI_PmS8_NS6_8equal_toIiEEEE10hipError_tPvRmT2_T3_mT4_T5_T6_T7_T8_P12ihipStream_tbENKUlT_T0_E_clISt17integral_constantIbLb0EES12_IbLb1EEEEDaSY_SZ_EUlSY_E_NS1_11comp_targetILNS1_3genE10ELNS1_11target_archE1200ELNS1_3gpuE4ELNS1_3repE0EEENS1_30default_config_static_selectorELNS0_4arch9wavefront6targetE0EEEvT1_.has_dyn_sized_stack, 0
	.set _ZN7rocprim17ROCPRIM_400000_NS6detail17trampoline_kernelINS0_14default_configENS1_29reduce_by_key_config_selectorIifN6thrust23THRUST_200600_302600_NS4plusIfEEEEZZNS1_33reduce_by_key_impl_wrapped_configILNS1_25lookback_scan_determinismE0ES3_S9_NS6_6detail15normal_iteratorINS6_10device_ptrIiEEEENSD_INSE_IfEEEESG_SI_PmS8_NS6_8equal_toIiEEEE10hipError_tPvRmT2_T3_mT4_T5_T6_T7_T8_P12ihipStream_tbENKUlT_T0_E_clISt17integral_constantIbLb0EES12_IbLb1EEEEDaSY_SZ_EUlSY_E_NS1_11comp_targetILNS1_3genE10ELNS1_11target_archE1200ELNS1_3gpuE4ELNS1_3repE0EEENS1_30default_config_static_selectorELNS0_4arch9wavefront6targetE0EEEvT1_.has_recursion, 0
	.set _ZN7rocprim17ROCPRIM_400000_NS6detail17trampoline_kernelINS0_14default_configENS1_29reduce_by_key_config_selectorIifN6thrust23THRUST_200600_302600_NS4plusIfEEEEZZNS1_33reduce_by_key_impl_wrapped_configILNS1_25lookback_scan_determinismE0ES3_S9_NS6_6detail15normal_iteratorINS6_10device_ptrIiEEEENSD_INSE_IfEEEESG_SI_PmS8_NS6_8equal_toIiEEEE10hipError_tPvRmT2_T3_mT4_T5_T6_T7_T8_P12ihipStream_tbENKUlT_T0_E_clISt17integral_constantIbLb0EES12_IbLb1EEEEDaSY_SZ_EUlSY_E_NS1_11comp_targetILNS1_3genE10ELNS1_11target_archE1200ELNS1_3gpuE4ELNS1_3repE0EEENS1_30default_config_static_selectorELNS0_4arch9wavefront6targetE0EEEvT1_.has_indirect_call, 0
	.section	.AMDGPU.csdata,"",@progbits
; Kernel info:
; codeLenInByte = 0
; TotalNumSgprs: 0
; NumVgprs: 0
; ScratchSize: 0
; MemoryBound: 0
; FloatMode: 240
; IeeeMode: 1
; LDSByteSize: 0 bytes/workgroup (compile time only)
; SGPRBlocks: 0
; VGPRBlocks: 0
; NumSGPRsForWavesPerEU: 1
; NumVGPRsForWavesPerEU: 1
; Occupancy: 16
; WaveLimiterHint : 0
; COMPUTE_PGM_RSRC2:SCRATCH_EN: 0
; COMPUTE_PGM_RSRC2:USER_SGPR: 6
; COMPUTE_PGM_RSRC2:TRAP_HANDLER: 0
; COMPUTE_PGM_RSRC2:TGID_X_EN: 1
; COMPUTE_PGM_RSRC2:TGID_Y_EN: 0
; COMPUTE_PGM_RSRC2:TGID_Z_EN: 0
; COMPUTE_PGM_RSRC2:TIDIG_COMP_CNT: 0
	.section	.text._ZN7rocprim17ROCPRIM_400000_NS6detail17trampoline_kernelINS0_14default_configENS1_29reduce_by_key_config_selectorIifN6thrust23THRUST_200600_302600_NS4plusIfEEEEZZNS1_33reduce_by_key_impl_wrapped_configILNS1_25lookback_scan_determinismE0ES3_S9_NS6_6detail15normal_iteratorINS6_10device_ptrIiEEEENSD_INSE_IfEEEESG_SI_PmS8_NS6_8equal_toIiEEEE10hipError_tPvRmT2_T3_mT4_T5_T6_T7_T8_P12ihipStream_tbENKUlT_T0_E_clISt17integral_constantIbLb0EES12_IbLb1EEEEDaSY_SZ_EUlSY_E_NS1_11comp_targetILNS1_3genE9ELNS1_11target_archE1100ELNS1_3gpuE3ELNS1_3repE0EEENS1_30default_config_static_selectorELNS0_4arch9wavefront6targetE0EEEvT1_,"axG",@progbits,_ZN7rocprim17ROCPRIM_400000_NS6detail17trampoline_kernelINS0_14default_configENS1_29reduce_by_key_config_selectorIifN6thrust23THRUST_200600_302600_NS4plusIfEEEEZZNS1_33reduce_by_key_impl_wrapped_configILNS1_25lookback_scan_determinismE0ES3_S9_NS6_6detail15normal_iteratorINS6_10device_ptrIiEEEENSD_INSE_IfEEEESG_SI_PmS8_NS6_8equal_toIiEEEE10hipError_tPvRmT2_T3_mT4_T5_T6_T7_T8_P12ihipStream_tbENKUlT_T0_E_clISt17integral_constantIbLb0EES12_IbLb1EEEEDaSY_SZ_EUlSY_E_NS1_11comp_targetILNS1_3genE9ELNS1_11target_archE1100ELNS1_3gpuE3ELNS1_3repE0EEENS1_30default_config_static_selectorELNS0_4arch9wavefront6targetE0EEEvT1_,comdat
	.protected	_ZN7rocprim17ROCPRIM_400000_NS6detail17trampoline_kernelINS0_14default_configENS1_29reduce_by_key_config_selectorIifN6thrust23THRUST_200600_302600_NS4plusIfEEEEZZNS1_33reduce_by_key_impl_wrapped_configILNS1_25lookback_scan_determinismE0ES3_S9_NS6_6detail15normal_iteratorINS6_10device_ptrIiEEEENSD_INSE_IfEEEESG_SI_PmS8_NS6_8equal_toIiEEEE10hipError_tPvRmT2_T3_mT4_T5_T6_T7_T8_P12ihipStream_tbENKUlT_T0_E_clISt17integral_constantIbLb0EES12_IbLb1EEEEDaSY_SZ_EUlSY_E_NS1_11comp_targetILNS1_3genE9ELNS1_11target_archE1100ELNS1_3gpuE3ELNS1_3repE0EEENS1_30default_config_static_selectorELNS0_4arch9wavefront6targetE0EEEvT1_ ; -- Begin function _ZN7rocprim17ROCPRIM_400000_NS6detail17trampoline_kernelINS0_14default_configENS1_29reduce_by_key_config_selectorIifN6thrust23THRUST_200600_302600_NS4plusIfEEEEZZNS1_33reduce_by_key_impl_wrapped_configILNS1_25lookback_scan_determinismE0ES3_S9_NS6_6detail15normal_iteratorINS6_10device_ptrIiEEEENSD_INSE_IfEEEESG_SI_PmS8_NS6_8equal_toIiEEEE10hipError_tPvRmT2_T3_mT4_T5_T6_T7_T8_P12ihipStream_tbENKUlT_T0_E_clISt17integral_constantIbLb0EES12_IbLb1EEEEDaSY_SZ_EUlSY_E_NS1_11comp_targetILNS1_3genE9ELNS1_11target_archE1100ELNS1_3gpuE3ELNS1_3repE0EEENS1_30default_config_static_selectorELNS0_4arch9wavefront6targetE0EEEvT1_
	.globl	_ZN7rocprim17ROCPRIM_400000_NS6detail17trampoline_kernelINS0_14default_configENS1_29reduce_by_key_config_selectorIifN6thrust23THRUST_200600_302600_NS4plusIfEEEEZZNS1_33reduce_by_key_impl_wrapped_configILNS1_25lookback_scan_determinismE0ES3_S9_NS6_6detail15normal_iteratorINS6_10device_ptrIiEEEENSD_INSE_IfEEEESG_SI_PmS8_NS6_8equal_toIiEEEE10hipError_tPvRmT2_T3_mT4_T5_T6_T7_T8_P12ihipStream_tbENKUlT_T0_E_clISt17integral_constantIbLb0EES12_IbLb1EEEEDaSY_SZ_EUlSY_E_NS1_11comp_targetILNS1_3genE9ELNS1_11target_archE1100ELNS1_3gpuE3ELNS1_3repE0EEENS1_30default_config_static_selectorELNS0_4arch9wavefront6targetE0EEEvT1_
	.p2align	8
	.type	_ZN7rocprim17ROCPRIM_400000_NS6detail17trampoline_kernelINS0_14default_configENS1_29reduce_by_key_config_selectorIifN6thrust23THRUST_200600_302600_NS4plusIfEEEEZZNS1_33reduce_by_key_impl_wrapped_configILNS1_25lookback_scan_determinismE0ES3_S9_NS6_6detail15normal_iteratorINS6_10device_ptrIiEEEENSD_INSE_IfEEEESG_SI_PmS8_NS6_8equal_toIiEEEE10hipError_tPvRmT2_T3_mT4_T5_T6_T7_T8_P12ihipStream_tbENKUlT_T0_E_clISt17integral_constantIbLb0EES12_IbLb1EEEEDaSY_SZ_EUlSY_E_NS1_11comp_targetILNS1_3genE9ELNS1_11target_archE1100ELNS1_3gpuE3ELNS1_3repE0EEENS1_30default_config_static_selectorELNS0_4arch9wavefront6targetE0EEEvT1_,@function
_ZN7rocprim17ROCPRIM_400000_NS6detail17trampoline_kernelINS0_14default_configENS1_29reduce_by_key_config_selectorIifN6thrust23THRUST_200600_302600_NS4plusIfEEEEZZNS1_33reduce_by_key_impl_wrapped_configILNS1_25lookback_scan_determinismE0ES3_S9_NS6_6detail15normal_iteratorINS6_10device_ptrIiEEEENSD_INSE_IfEEEESG_SI_PmS8_NS6_8equal_toIiEEEE10hipError_tPvRmT2_T3_mT4_T5_T6_T7_T8_P12ihipStream_tbENKUlT_T0_E_clISt17integral_constantIbLb0EES12_IbLb1EEEEDaSY_SZ_EUlSY_E_NS1_11comp_targetILNS1_3genE9ELNS1_11target_archE1100ELNS1_3gpuE3ELNS1_3repE0EEENS1_30default_config_static_selectorELNS0_4arch9wavefront6targetE0EEEvT1_: ; @_ZN7rocprim17ROCPRIM_400000_NS6detail17trampoline_kernelINS0_14default_configENS1_29reduce_by_key_config_selectorIifN6thrust23THRUST_200600_302600_NS4plusIfEEEEZZNS1_33reduce_by_key_impl_wrapped_configILNS1_25lookback_scan_determinismE0ES3_S9_NS6_6detail15normal_iteratorINS6_10device_ptrIiEEEENSD_INSE_IfEEEESG_SI_PmS8_NS6_8equal_toIiEEEE10hipError_tPvRmT2_T3_mT4_T5_T6_T7_T8_P12ihipStream_tbENKUlT_T0_E_clISt17integral_constantIbLb0EES12_IbLb1EEEEDaSY_SZ_EUlSY_E_NS1_11comp_targetILNS1_3genE9ELNS1_11target_archE1100ELNS1_3gpuE3ELNS1_3repE0EEENS1_30default_config_static_selectorELNS0_4arch9wavefront6targetE0EEEvT1_
; %bb.0:
	.section	.rodata,"a",@progbits
	.p2align	6, 0x0
	.amdhsa_kernel _ZN7rocprim17ROCPRIM_400000_NS6detail17trampoline_kernelINS0_14default_configENS1_29reduce_by_key_config_selectorIifN6thrust23THRUST_200600_302600_NS4plusIfEEEEZZNS1_33reduce_by_key_impl_wrapped_configILNS1_25lookback_scan_determinismE0ES3_S9_NS6_6detail15normal_iteratorINS6_10device_ptrIiEEEENSD_INSE_IfEEEESG_SI_PmS8_NS6_8equal_toIiEEEE10hipError_tPvRmT2_T3_mT4_T5_T6_T7_T8_P12ihipStream_tbENKUlT_T0_E_clISt17integral_constantIbLb0EES12_IbLb1EEEEDaSY_SZ_EUlSY_E_NS1_11comp_targetILNS1_3genE9ELNS1_11target_archE1100ELNS1_3gpuE3ELNS1_3repE0EEENS1_30default_config_static_selectorELNS0_4arch9wavefront6targetE0EEEvT1_
		.amdhsa_group_segment_fixed_size 0
		.amdhsa_private_segment_fixed_size 0
		.amdhsa_kernarg_size 120
		.amdhsa_user_sgpr_count 6
		.amdhsa_user_sgpr_private_segment_buffer 1
		.amdhsa_user_sgpr_dispatch_ptr 0
		.amdhsa_user_sgpr_queue_ptr 0
		.amdhsa_user_sgpr_kernarg_segment_ptr 1
		.amdhsa_user_sgpr_dispatch_id 0
		.amdhsa_user_sgpr_flat_scratch_init 0
		.amdhsa_user_sgpr_private_segment_size 0
		.amdhsa_wavefront_size32 1
		.amdhsa_uses_dynamic_stack 0
		.amdhsa_system_sgpr_private_segment_wavefront_offset 0
		.amdhsa_system_sgpr_workgroup_id_x 1
		.amdhsa_system_sgpr_workgroup_id_y 0
		.amdhsa_system_sgpr_workgroup_id_z 0
		.amdhsa_system_sgpr_workgroup_info 0
		.amdhsa_system_vgpr_workitem_id 0
		.amdhsa_next_free_vgpr 1
		.amdhsa_next_free_sgpr 1
		.amdhsa_reserve_vcc 0
		.amdhsa_reserve_flat_scratch 0
		.amdhsa_float_round_mode_32 0
		.amdhsa_float_round_mode_16_64 0
		.amdhsa_float_denorm_mode_32 3
		.amdhsa_float_denorm_mode_16_64 3
		.amdhsa_dx10_clamp 1
		.amdhsa_ieee_mode 1
		.amdhsa_fp16_overflow 0
		.amdhsa_workgroup_processor_mode 1
		.amdhsa_memory_ordered 1
		.amdhsa_forward_progress 1
		.amdhsa_shared_vgpr_count 0
		.amdhsa_exception_fp_ieee_invalid_op 0
		.amdhsa_exception_fp_denorm_src 0
		.amdhsa_exception_fp_ieee_div_zero 0
		.amdhsa_exception_fp_ieee_overflow 0
		.amdhsa_exception_fp_ieee_underflow 0
		.amdhsa_exception_fp_ieee_inexact 0
		.amdhsa_exception_int_div_zero 0
	.end_amdhsa_kernel
	.section	.text._ZN7rocprim17ROCPRIM_400000_NS6detail17trampoline_kernelINS0_14default_configENS1_29reduce_by_key_config_selectorIifN6thrust23THRUST_200600_302600_NS4plusIfEEEEZZNS1_33reduce_by_key_impl_wrapped_configILNS1_25lookback_scan_determinismE0ES3_S9_NS6_6detail15normal_iteratorINS6_10device_ptrIiEEEENSD_INSE_IfEEEESG_SI_PmS8_NS6_8equal_toIiEEEE10hipError_tPvRmT2_T3_mT4_T5_T6_T7_T8_P12ihipStream_tbENKUlT_T0_E_clISt17integral_constantIbLb0EES12_IbLb1EEEEDaSY_SZ_EUlSY_E_NS1_11comp_targetILNS1_3genE9ELNS1_11target_archE1100ELNS1_3gpuE3ELNS1_3repE0EEENS1_30default_config_static_selectorELNS0_4arch9wavefront6targetE0EEEvT1_,"axG",@progbits,_ZN7rocprim17ROCPRIM_400000_NS6detail17trampoline_kernelINS0_14default_configENS1_29reduce_by_key_config_selectorIifN6thrust23THRUST_200600_302600_NS4plusIfEEEEZZNS1_33reduce_by_key_impl_wrapped_configILNS1_25lookback_scan_determinismE0ES3_S9_NS6_6detail15normal_iteratorINS6_10device_ptrIiEEEENSD_INSE_IfEEEESG_SI_PmS8_NS6_8equal_toIiEEEE10hipError_tPvRmT2_T3_mT4_T5_T6_T7_T8_P12ihipStream_tbENKUlT_T0_E_clISt17integral_constantIbLb0EES12_IbLb1EEEEDaSY_SZ_EUlSY_E_NS1_11comp_targetILNS1_3genE9ELNS1_11target_archE1100ELNS1_3gpuE3ELNS1_3repE0EEENS1_30default_config_static_selectorELNS0_4arch9wavefront6targetE0EEEvT1_,comdat
.Lfunc_end103:
	.size	_ZN7rocprim17ROCPRIM_400000_NS6detail17trampoline_kernelINS0_14default_configENS1_29reduce_by_key_config_selectorIifN6thrust23THRUST_200600_302600_NS4plusIfEEEEZZNS1_33reduce_by_key_impl_wrapped_configILNS1_25lookback_scan_determinismE0ES3_S9_NS6_6detail15normal_iteratorINS6_10device_ptrIiEEEENSD_INSE_IfEEEESG_SI_PmS8_NS6_8equal_toIiEEEE10hipError_tPvRmT2_T3_mT4_T5_T6_T7_T8_P12ihipStream_tbENKUlT_T0_E_clISt17integral_constantIbLb0EES12_IbLb1EEEEDaSY_SZ_EUlSY_E_NS1_11comp_targetILNS1_3genE9ELNS1_11target_archE1100ELNS1_3gpuE3ELNS1_3repE0EEENS1_30default_config_static_selectorELNS0_4arch9wavefront6targetE0EEEvT1_, .Lfunc_end103-_ZN7rocprim17ROCPRIM_400000_NS6detail17trampoline_kernelINS0_14default_configENS1_29reduce_by_key_config_selectorIifN6thrust23THRUST_200600_302600_NS4plusIfEEEEZZNS1_33reduce_by_key_impl_wrapped_configILNS1_25lookback_scan_determinismE0ES3_S9_NS6_6detail15normal_iteratorINS6_10device_ptrIiEEEENSD_INSE_IfEEEESG_SI_PmS8_NS6_8equal_toIiEEEE10hipError_tPvRmT2_T3_mT4_T5_T6_T7_T8_P12ihipStream_tbENKUlT_T0_E_clISt17integral_constantIbLb0EES12_IbLb1EEEEDaSY_SZ_EUlSY_E_NS1_11comp_targetILNS1_3genE9ELNS1_11target_archE1100ELNS1_3gpuE3ELNS1_3repE0EEENS1_30default_config_static_selectorELNS0_4arch9wavefront6targetE0EEEvT1_
                                        ; -- End function
	.set _ZN7rocprim17ROCPRIM_400000_NS6detail17trampoline_kernelINS0_14default_configENS1_29reduce_by_key_config_selectorIifN6thrust23THRUST_200600_302600_NS4plusIfEEEEZZNS1_33reduce_by_key_impl_wrapped_configILNS1_25lookback_scan_determinismE0ES3_S9_NS6_6detail15normal_iteratorINS6_10device_ptrIiEEEENSD_INSE_IfEEEESG_SI_PmS8_NS6_8equal_toIiEEEE10hipError_tPvRmT2_T3_mT4_T5_T6_T7_T8_P12ihipStream_tbENKUlT_T0_E_clISt17integral_constantIbLb0EES12_IbLb1EEEEDaSY_SZ_EUlSY_E_NS1_11comp_targetILNS1_3genE9ELNS1_11target_archE1100ELNS1_3gpuE3ELNS1_3repE0EEENS1_30default_config_static_selectorELNS0_4arch9wavefront6targetE0EEEvT1_.num_vgpr, 0
	.set _ZN7rocprim17ROCPRIM_400000_NS6detail17trampoline_kernelINS0_14default_configENS1_29reduce_by_key_config_selectorIifN6thrust23THRUST_200600_302600_NS4plusIfEEEEZZNS1_33reduce_by_key_impl_wrapped_configILNS1_25lookback_scan_determinismE0ES3_S9_NS6_6detail15normal_iteratorINS6_10device_ptrIiEEEENSD_INSE_IfEEEESG_SI_PmS8_NS6_8equal_toIiEEEE10hipError_tPvRmT2_T3_mT4_T5_T6_T7_T8_P12ihipStream_tbENKUlT_T0_E_clISt17integral_constantIbLb0EES12_IbLb1EEEEDaSY_SZ_EUlSY_E_NS1_11comp_targetILNS1_3genE9ELNS1_11target_archE1100ELNS1_3gpuE3ELNS1_3repE0EEENS1_30default_config_static_selectorELNS0_4arch9wavefront6targetE0EEEvT1_.num_agpr, 0
	.set _ZN7rocprim17ROCPRIM_400000_NS6detail17trampoline_kernelINS0_14default_configENS1_29reduce_by_key_config_selectorIifN6thrust23THRUST_200600_302600_NS4plusIfEEEEZZNS1_33reduce_by_key_impl_wrapped_configILNS1_25lookback_scan_determinismE0ES3_S9_NS6_6detail15normal_iteratorINS6_10device_ptrIiEEEENSD_INSE_IfEEEESG_SI_PmS8_NS6_8equal_toIiEEEE10hipError_tPvRmT2_T3_mT4_T5_T6_T7_T8_P12ihipStream_tbENKUlT_T0_E_clISt17integral_constantIbLb0EES12_IbLb1EEEEDaSY_SZ_EUlSY_E_NS1_11comp_targetILNS1_3genE9ELNS1_11target_archE1100ELNS1_3gpuE3ELNS1_3repE0EEENS1_30default_config_static_selectorELNS0_4arch9wavefront6targetE0EEEvT1_.numbered_sgpr, 0
	.set _ZN7rocprim17ROCPRIM_400000_NS6detail17trampoline_kernelINS0_14default_configENS1_29reduce_by_key_config_selectorIifN6thrust23THRUST_200600_302600_NS4plusIfEEEEZZNS1_33reduce_by_key_impl_wrapped_configILNS1_25lookback_scan_determinismE0ES3_S9_NS6_6detail15normal_iteratorINS6_10device_ptrIiEEEENSD_INSE_IfEEEESG_SI_PmS8_NS6_8equal_toIiEEEE10hipError_tPvRmT2_T3_mT4_T5_T6_T7_T8_P12ihipStream_tbENKUlT_T0_E_clISt17integral_constantIbLb0EES12_IbLb1EEEEDaSY_SZ_EUlSY_E_NS1_11comp_targetILNS1_3genE9ELNS1_11target_archE1100ELNS1_3gpuE3ELNS1_3repE0EEENS1_30default_config_static_selectorELNS0_4arch9wavefront6targetE0EEEvT1_.num_named_barrier, 0
	.set _ZN7rocprim17ROCPRIM_400000_NS6detail17trampoline_kernelINS0_14default_configENS1_29reduce_by_key_config_selectorIifN6thrust23THRUST_200600_302600_NS4plusIfEEEEZZNS1_33reduce_by_key_impl_wrapped_configILNS1_25lookback_scan_determinismE0ES3_S9_NS6_6detail15normal_iteratorINS6_10device_ptrIiEEEENSD_INSE_IfEEEESG_SI_PmS8_NS6_8equal_toIiEEEE10hipError_tPvRmT2_T3_mT4_T5_T6_T7_T8_P12ihipStream_tbENKUlT_T0_E_clISt17integral_constantIbLb0EES12_IbLb1EEEEDaSY_SZ_EUlSY_E_NS1_11comp_targetILNS1_3genE9ELNS1_11target_archE1100ELNS1_3gpuE3ELNS1_3repE0EEENS1_30default_config_static_selectorELNS0_4arch9wavefront6targetE0EEEvT1_.private_seg_size, 0
	.set _ZN7rocprim17ROCPRIM_400000_NS6detail17trampoline_kernelINS0_14default_configENS1_29reduce_by_key_config_selectorIifN6thrust23THRUST_200600_302600_NS4plusIfEEEEZZNS1_33reduce_by_key_impl_wrapped_configILNS1_25lookback_scan_determinismE0ES3_S9_NS6_6detail15normal_iteratorINS6_10device_ptrIiEEEENSD_INSE_IfEEEESG_SI_PmS8_NS6_8equal_toIiEEEE10hipError_tPvRmT2_T3_mT4_T5_T6_T7_T8_P12ihipStream_tbENKUlT_T0_E_clISt17integral_constantIbLb0EES12_IbLb1EEEEDaSY_SZ_EUlSY_E_NS1_11comp_targetILNS1_3genE9ELNS1_11target_archE1100ELNS1_3gpuE3ELNS1_3repE0EEENS1_30default_config_static_selectorELNS0_4arch9wavefront6targetE0EEEvT1_.uses_vcc, 0
	.set _ZN7rocprim17ROCPRIM_400000_NS6detail17trampoline_kernelINS0_14default_configENS1_29reduce_by_key_config_selectorIifN6thrust23THRUST_200600_302600_NS4plusIfEEEEZZNS1_33reduce_by_key_impl_wrapped_configILNS1_25lookback_scan_determinismE0ES3_S9_NS6_6detail15normal_iteratorINS6_10device_ptrIiEEEENSD_INSE_IfEEEESG_SI_PmS8_NS6_8equal_toIiEEEE10hipError_tPvRmT2_T3_mT4_T5_T6_T7_T8_P12ihipStream_tbENKUlT_T0_E_clISt17integral_constantIbLb0EES12_IbLb1EEEEDaSY_SZ_EUlSY_E_NS1_11comp_targetILNS1_3genE9ELNS1_11target_archE1100ELNS1_3gpuE3ELNS1_3repE0EEENS1_30default_config_static_selectorELNS0_4arch9wavefront6targetE0EEEvT1_.uses_flat_scratch, 0
	.set _ZN7rocprim17ROCPRIM_400000_NS6detail17trampoline_kernelINS0_14default_configENS1_29reduce_by_key_config_selectorIifN6thrust23THRUST_200600_302600_NS4plusIfEEEEZZNS1_33reduce_by_key_impl_wrapped_configILNS1_25lookback_scan_determinismE0ES3_S9_NS6_6detail15normal_iteratorINS6_10device_ptrIiEEEENSD_INSE_IfEEEESG_SI_PmS8_NS6_8equal_toIiEEEE10hipError_tPvRmT2_T3_mT4_T5_T6_T7_T8_P12ihipStream_tbENKUlT_T0_E_clISt17integral_constantIbLb0EES12_IbLb1EEEEDaSY_SZ_EUlSY_E_NS1_11comp_targetILNS1_3genE9ELNS1_11target_archE1100ELNS1_3gpuE3ELNS1_3repE0EEENS1_30default_config_static_selectorELNS0_4arch9wavefront6targetE0EEEvT1_.has_dyn_sized_stack, 0
	.set _ZN7rocprim17ROCPRIM_400000_NS6detail17trampoline_kernelINS0_14default_configENS1_29reduce_by_key_config_selectorIifN6thrust23THRUST_200600_302600_NS4plusIfEEEEZZNS1_33reduce_by_key_impl_wrapped_configILNS1_25lookback_scan_determinismE0ES3_S9_NS6_6detail15normal_iteratorINS6_10device_ptrIiEEEENSD_INSE_IfEEEESG_SI_PmS8_NS6_8equal_toIiEEEE10hipError_tPvRmT2_T3_mT4_T5_T6_T7_T8_P12ihipStream_tbENKUlT_T0_E_clISt17integral_constantIbLb0EES12_IbLb1EEEEDaSY_SZ_EUlSY_E_NS1_11comp_targetILNS1_3genE9ELNS1_11target_archE1100ELNS1_3gpuE3ELNS1_3repE0EEENS1_30default_config_static_selectorELNS0_4arch9wavefront6targetE0EEEvT1_.has_recursion, 0
	.set _ZN7rocprim17ROCPRIM_400000_NS6detail17trampoline_kernelINS0_14default_configENS1_29reduce_by_key_config_selectorIifN6thrust23THRUST_200600_302600_NS4plusIfEEEEZZNS1_33reduce_by_key_impl_wrapped_configILNS1_25lookback_scan_determinismE0ES3_S9_NS6_6detail15normal_iteratorINS6_10device_ptrIiEEEENSD_INSE_IfEEEESG_SI_PmS8_NS6_8equal_toIiEEEE10hipError_tPvRmT2_T3_mT4_T5_T6_T7_T8_P12ihipStream_tbENKUlT_T0_E_clISt17integral_constantIbLb0EES12_IbLb1EEEEDaSY_SZ_EUlSY_E_NS1_11comp_targetILNS1_3genE9ELNS1_11target_archE1100ELNS1_3gpuE3ELNS1_3repE0EEENS1_30default_config_static_selectorELNS0_4arch9wavefront6targetE0EEEvT1_.has_indirect_call, 0
	.section	.AMDGPU.csdata,"",@progbits
; Kernel info:
; codeLenInByte = 0
; TotalNumSgprs: 0
; NumVgprs: 0
; ScratchSize: 0
; MemoryBound: 0
; FloatMode: 240
; IeeeMode: 1
; LDSByteSize: 0 bytes/workgroup (compile time only)
; SGPRBlocks: 0
; VGPRBlocks: 0
; NumSGPRsForWavesPerEU: 1
; NumVGPRsForWavesPerEU: 1
; Occupancy: 16
; WaveLimiterHint : 0
; COMPUTE_PGM_RSRC2:SCRATCH_EN: 0
; COMPUTE_PGM_RSRC2:USER_SGPR: 6
; COMPUTE_PGM_RSRC2:TRAP_HANDLER: 0
; COMPUTE_PGM_RSRC2:TGID_X_EN: 1
; COMPUTE_PGM_RSRC2:TGID_Y_EN: 0
; COMPUTE_PGM_RSRC2:TGID_Z_EN: 0
; COMPUTE_PGM_RSRC2:TIDIG_COMP_CNT: 0
	.section	.text._ZN7rocprim17ROCPRIM_400000_NS6detail17trampoline_kernelINS0_14default_configENS1_29reduce_by_key_config_selectorIifN6thrust23THRUST_200600_302600_NS4plusIfEEEEZZNS1_33reduce_by_key_impl_wrapped_configILNS1_25lookback_scan_determinismE0ES3_S9_NS6_6detail15normal_iteratorINS6_10device_ptrIiEEEENSD_INSE_IfEEEESG_SI_PmS8_NS6_8equal_toIiEEEE10hipError_tPvRmT2_T3_mT4_T5_T6_T7_T8_P12ihipStream_tbENKUlT_T0_E_clISt17integral_constantIbLb0EES12_IbLb1EEEEDaSY_SZ_EUlSY_E_NS1_11comp_targetILNS1_3genE8ELNS1_11target_archE1030ELNS1_3gpuE2ELNS1_3repE0EEENS1_30default_config_static_selectorELNS0_4arch9wavefront6targetE0EEEvT1_,"axG",@progbits,_ZN7rocprim17ROCPRIM_400000_NS6detail17trampoline_kernelINS0_14default_configENS1_29reduce_by_key_config_selectorIifN6thrust23THRUST_200600_302600_NS4plusIfEEEEZZNS1_33reduce_by_key_impl_wrapped_configILNS1_25lookback_scan_determinismE0ES3_S9_NS6_6detail15normal_iteratorINS6_10device_ptrIiEEEENSD_INSE_IfEEEESG_SI_PmS8_NS6_8equal_toIiEEEE10hipError_tPvRmT2_T3_mT4_T5_T6_T7_T8_P12ihipStream_tbENKUlT_T0_E_clISt17integral_constantIbLb0EES12_IbLb1EEEEDaSY_SZ_EUlSY_E_NS1_11comp_targetILNS1_3genE8ELNS1_11target_archE1030ELNS1_3gpuE2ELNS1_3repE0EEENS1_30default_config_static_selectorELNS0_4arch9wavefront6targetE0EEEvT1_,comdat
	.protected	_ZN7rocprim17ROCPRIM_400000_NS6detail17trampoline_kernelINS0_14default_configENS1_29reduce_by_key_config_selectorIifN6thrust23THRUST_200600_302600_NS4plusIfEEEEZZNS1_33reduce_by_key_impl_wrapped_configILNS1_25lookback_scan_determinismE0ES3_S9_NS6_6detail15normal_iteratorINS6_10device_ptrIiEEEENSD_INSE_IfEEEESG_SI_PmS8_NS6_8equal_toIiEEEE10hipError_tPvRmT2_T3_mT4_T5_T6_T7_T8_P12ihipStream_tbENKUlT_T0_E_clISt17integral_constantIbLb0EES12_IbLb1EEEEDaSY_SZ_EUlSY_E_NS1_11comp_targetILNS1_3genE8ELNS1_11target_archE1030ELNS1_3gpuE2ELNS1_3repE0EEENS1_30default_config_static_selectorELNS0_4arch9wavefront6targetE0EEEvT1_ ; -- Begin function _ZN7rocprim17ROCPRIM_400000_NS6detail17trampoline_kernelINS0_14default_configENS1_29reduce_by_key_config_selectorIifN6thrust23THRUST_200600_302600_NS4plusIfEEEEZZNS1_33reduce_by_key_impl_wrapped_configILNS1_25lookback_scan_determinismE0ES3_S9_NS6_6detail15normal_iteratorINS6_10device_ptrIiEEEENSD_INSE_IfEEEESG_SI_PmS8_NS6_8equal_toIiEEEE10hipError_tPvRmT2_T3_mT4_T5_T6_T7_T8_P12ihipStream_tbENKUlT_T0_E_clISt17integral_constantIbLb0EES12_IbLb1EEEEDaSY_SZ_EUlSY_E_NS1_11comp_targetILNS1_3genE8ELNS1_11target_archE1030ELNS1_3gpuE2ELNS1_3repE0EEENS1_30default_config_static_selectorELNS0_4arch9wavefront6targetE0EEEvT1_
	.globl	_ZN7rocprim17ROCPRIM_400000_NS6detail17trampoline_kernelINS0_14default_configENS1_29reduce_by_key_config_selectorIifN6thrust23THRUST_200600_302600_NS4plusIfEEEEZZNS1_33reduce_by_key_impl_wrapped_configILNS1_25lookback_scan_determinismE0ES3_S9_NS6_6detail15normal_iteratorINS6_10device_ptrIiEEEENSD_INSE_IfEEEESG_SI_PmS8_NS6_8equal_toIiEEEE10hipError_tPvRmT2_T3_mT4_T5_T6_T7_T8_P12ihipStream_tbENKUlT_T0_E_clISt17integral_constantIbLb0EES12_IbLb1EEEEDaSY_SZ_EUlSY_E_NS1_11comp_targetILNS1_3genE8ELNS1_11target_archE1030ELNS1_3gpuE2ELNS1_3repE0EEENS1_30default_config_static_selectorELNS0_4arch9wavefront6targetE0EEEvT1_
	.p2align	8
	.type	_ZN7rocprim17ROCPRIM_400000_NS6detail17trampoline_kernelINS0_14default_configENS1_29reduce_by_key_config_selectorIifN6thrust23THRUST_200600_302600_NS4plusIfEEEEZZNS1_33reduce_by_key_impl_wrapped_configILNS1_25lookback_scan_determinismE0ES3_S9_NS6_6detail15normal_iteratorINS6_10device_ptrIiEEEENSD_INSE_IfEEEESG_SI_PmS8_NS6_8equal_toIiEEEE10hipError_tPvRmT2_T3_mT4_T5_T6_T7_T8_P12ihipStream_tbENKUlT_T0_E_clISt17integral_constantIbLb0EES12_IbLb1EEEEDaSY_SZ_EUlSY_E_NS1_11comp_targetILNS1_3genE8ELNS1_11target_archE1030ELNS1_3gpuE2ELNS1_3repE0EEENS1_30default_config_static_selectorELNS0_4arch9wavefront6targetE0EEEvT1_,@function
_ZN7rocprim17ROCPRIM_400000_NS6detail17trampoline_kernelINS0_14default_configENS1_29reduce_by_key_config_selectorIifN6thrust23THRUST_200600_302600_NS4plusIfEEEEZZNS1_33reduce_by_key_impl_wrapped_configILNS1_25lookback_scan_determinismE0ES3_S9_NS6_6detail15normal_iteratorINS6_10device_ptrIiEEEENSD_INSE_IfEEEESG_SI_PmS8_NS6_8equal_toIiEEEE10hipError_tPvRmT2_T3_mT4_T5_T6_T7_T8_P12ihipStream_tbENKUlT_T0_E_clISt17integral_constantIbLb0EES12_IbLb1EEEEDaSY_SZ_EUlSY_E_NS1_11comp_targetILNS1_3genE8ELNS1_11target_archE1030ELNS1_3gpuE2ELNS1_3repE0EEENS1_30default_config_static_selectorELNS0_4arch9wavefront6targetE0EEEvT1_: ; @_ZN7rocprim17ROCPRIM_400000_NS6detail17trampoline_kernelINS0_14default_configENS1_29reduce_by_key_config_selectorIifN6thrust23THRUST_200600_302600_NS4plusIfEEEEZZNS1_33reduce_by_key_impl_wrapped_configILNS1_25lookback_scan_determinismE0ES3_S9_NS6_6detail15normal_iteratorINS6_10device_ptrIiEEEENSD_INSE_IfEEEESG_SI_PmS8_NS6_8equal_toIiEEEE10hipError_tPvRmT2_T3_mT4_T5_T6_T7_T8_P12ihipStream_tbENKUlT_T0_E_clISt17integral_constantIbLb0EES12_IbLb1EEEEDaSY_SZ_EUlSY_E_NS1_11comp_targetILNS1_3genE8ELNS1_11target_archE1030ELNS1_3gpuE2ELNS1_3repE0EEENS1_30default_config_static_selectorELNS0_4arch9wavefront6targetE0EEEvT1_
; %bb.0:
	s_clause 0x4
	s_load_dwordx8 s[12:19], s[4:5], 0x0
	s_load_dwordx4 s[28:31], s[4:5], 0x20
	s_load_dwordx8 s[20:27], s[4:5], 0x38
	s_load_dwordx2 s[34:35], s[4:5], 0x68
	s_load_dwordx4 s[36:39], s[4:5], 0x58
	v_cmp_ne_u32_e64 s1, 0, v0
	v_cmp_eq_u32_e64 s0, 0, v0
	s_and_saveexec_b32 s2, s0
	s_cbranch_execz .LBB104_4
; %bb.1:
	s_mov_b32 s6, exec_lo
	s_mov_b32 s3, exec_lo
	v_mbcnt_lo_u32_b32 v1, s6, 0
                                        ; implicit-def: $vgpr2
	v_cmpx_eq_u32_e32 0, v1
	s_cbranch_execz .LBB104_3
; %bb.2:
	s_load_dwordx2 s[4:5], s[4:5], 0x70
	s_bcnt1_i32_b32 s6, s6
	v_mov_b32_e32 v2, 0
	v_mov_b32_e32 v3, s6
	s_waitcnt lgkmcnt(0)
	global_atomic_add v2, v2, v3, s[4:5] glc
.LBB104_3:
	s_or_b32 exec_lo, exec_lo, s3
	s_waitcnt vmcnt(0)
	v_readfirstlane_b32 s3, v2
	v_mov_b32_e32 v2, 0
	v_add_nc_u32_e32 v1, s3, v1
	ds_write_b32 v2, v1
.LBB104_4:
	s_or_b32 exec_lo, exec_lo, s2
	v_mov_b32_e32 v2, 0
	s_waitcnt lgkmcnt(0)
	s_barrier
	buffer_gl0_inv
	s_lshl_b64 s[4:5], s[14:15], 2
	ds_read_b32 v1, v2
	s_add_u32 s9, s12, s4
	s_mul_i32 s3, s24, s23
	s_mul_hi_u32 s6, s24, s22
	s_addc_u32 s10, s13, s5
	s_add_u32 s11, s16, s4
	s_mul_i32 s7, s25, s22
	s_addc_u32 s12, s17, s5
	s_add_i32 s3, s6, s3
	s_mul_i32 s8, s24, s22
	s_add_i32 s3, s3, s7
	s_mov_b32 s2, 0
	s_waitcnt lgkmcnt(0)
	s_barrier
	buffer_gl0_inv
	v_readfirstlane_b32 s33, v1
	v_mul_lo_u32 v1, 0xf00, v1
	s_add_u32 s24, s8, s33
	s_addc_u32 s25, s3, 0
	s_add_u32 s4, s26, -1
	s_addc_u32 s5, s27, -1
	v_lshlrev_b64 v[1:2], 2, v[1:2]
	s_cmp_eq_u64 s[24:25], s[4:5]
	s_mul_i32 s26, s4, 0xfffff100
	s_cselect_b32 s17, -1, 0
	s_cmp_lg_u64 s[24:25], s[4:5]
	v_add_co_u32 v40, vcc_lo, s9, v1
	v_add_co_ci_u32_e64 v38, null, s10, v2, vcc_lo
	v_add_co_u32 v37, vcc_lo, s11, v1
	v_add_co_ci_u32_e64 v39, null, s12, v2, vcc_lo
	s_cselect_b32 s40, -1, 0
	s_and_b32 vcc_lo, exec_lo, s17
	s_cbranch_vccnz .LBB104_6
; %bb.5:
	v_lshlrev_b32_e32 v31, 2, v0
	v_add_co_u32 v1, vcc_lo, v40, v31
	v_add_co_ci_u32_e64 v2, null, 0, v38, vcc_lo
	v_mad_u32_u24 v41, v0, 56, v31
	v_add_co_u32 v3, vcc_lo, 0x800, v1
	v_add_co_ci_u32_e64 v4, null, 0, v2, vcc_lo
	v_add_co_u32 v5, vcc_lo, 0x1000, v1
	v_add_co_ci_u32_e64 v6, null, 0, v2, vcc_lo
	;; [unrolled: 2-line block ×3, first 2 shown]
	s_clause 0x7
	flat_load_dword v17, v[1:2]
	flat_load_dword v18, v[1:2] offset:1024
	flat_load_dword v19, v[3:4]
	flat_load_dword v20, v[3:4] offset:1024
	;; [unrolled: 2-line block ×4, first 2 shown]
	v_add_co_u32 v3, vcc_lo, 0x2000, v1
	v_add_co_ci_u32_e64 v4, null, 0, v2, vcc_lo
	v_add_co_u32 v5, vcc_lo, 0x2800, v1
	v_add_co_ci_u32_e64 v6, null, 0, v2, vcc_lo
	;; [unrolled: 2-line block ×4, first 2 shown]
	s_clause 0x6
	flat_load_dword v25, v[3:4]
	flat_load_dword v26, v[3:4] offset:1024
	flat_load_dword v27, v[5:6]
	flat_load_dword v28, v[5:6] offset:1024
	;; [unrolled: 2-line block ×3, first 2 shown]
	flat_load_dword v32, v[1:2]
	v_add_co_u32 v1, vcc_lo, v37, v31
	v_add_co_ci_u32_e64 v2, null, 0, v39, vcc_lo
	s_waitcnt vmcnt(13) lgkmcnt(13)
	ds_write2st64_b32 v31, v17, v18 offset1:4
	s_waitcnt vmcnt(11) lgkmcnt(12)
	ds_write2st64_b32 v31, v19, v20 offset0:8 offset1:12
	s_waitcnt vmcnt(9) lgkmcnt(11)
	ds_write2st64_b32 v31, v21, v22 offset0:16 offset1:20
	s_waitcnt vmcnt(7) lgkmcnt(10)
	ds_write2st64_b32 v31, v23, v24 offset0:24 offset1:28
	s_waitcnt vmcnt(5) lgkmcnt(9)
	ds_write2st64_b32 v31, v25, v26 offset0:32 offset1:36
	s_waitcnt vmcnt(3) lgkmcnt(8)
	ds_write2st64_b32 v31, v27, v28 offset0:40 offset1:44
	s_waitcnt vmcnt(1) lgkmcnt(7)
	ds_write2st64_b32 v31, v29, v30 offset0:48 offset1:52
	s_waitcnt vmcnt(0) lgkmcnt(7)
	ds_write_b32 v31, v32 offset:14336
	v_add_co_u32 v3, vcc_lo, 0x800, v1
	v_add_co_ci_u32_e64 v4, null, 0, v2, vcc_lo
	v_add_co_u32 v5, vcc_lo, 0x1000, v1
	v_add_co_ci_u32_e64 v6, null, 0, v2, vcc_lo
	v_add_co_u32 v7, vcc_lo, 0x1800, v1
	v_add_co_ci_u32_e64 v8, null, 0, v2, vcc_lo
	v_add_co_u32 v9, vcc_lo, 0x2000, v1
	v_add_co_ci_u32_e64 v10, null, 0, v2, vcc_lo
	v_add_co_u32 v11, vcc_lo, 0x2800, v1
	v_add_co_ci_u32_e64 v12, null, 0, v2, vcc_lo
	v_add_co_u32 v13, vcc_lo, 0x3000, v1
	v_add_co_ci_u32_e64 v14, null, 0, v2, vcc_lo
	v_add_co_u32 v15, vcc_lo, 0x3800, v1
	v_add_co_ci_u32_e64 v16, null, 0, v2, vcc_lo
	s_waitcnt lgkmcnt(0)
	s_barrier
	buffer_gl0_inv
	ds_read2_b32 v[29:30], v41 offset1:1
	ds_read2_b32 v[27:28], v41 offset0:2 offset1:3
	ds_read2_b32 v[25:26], v41 offset0:4 offset1:5
	;; [unrolled: 1-line block ×6, first 2 shown]
	ds_read_b32 v58, v41 offset:56
	s_waitcnt lgkmcnt(0)
	s_barrier
	buffer_gl0_inv
	s_clause 0xe
	flat_load_dword v32, v[1:2]
	flat_load_dword v1, v[1:2] offset:1024
	flat_load_dword v2, v[3:4]
	flat_load_dword v3, v[3:4] offset:1024
	;; [unrolled: 2-line block ×7, first 2 shown]
	flat_load_dword v14, v[15:16]
	s_waitcnt vmcnt(13) lgkmcnt(13)
	ds_write2st64_b32 v31, v32, v1 offset1:4
	s_waitcnt vmcnt(11) lgkmcnt(12)
	ds_write2st64_b32 v31, v2, v3 offset0:8 offset1:12
	s_waitcnt vmcnt(9) lgkmcnt(11)
	ds_write2st64_b32 v31, v4, v5 offset0:16 offset1:20
	s_waitcnt vmcnt(7) lgkmcnt(10)
	ds_write2st64_b32 v31, v6, v7 offset0:24 offset1:28
	s_waitcnt vmcnt(5) lgkmcnt(9)
	ds_write2st64_b32 v31, v8, v9 offset0:32 offset1:36
	s_waitcnt vmcnt(3) lgkmcnt(8)
	ds_write2st64_b32 v31, v10, v11 offset0:40 offset1:44
	s_waitcnt vmcnt(1) lgkmcnt(7)
	ds_write2st64_b32 v31, v12, v13 offset0:48 offset1:52
	s_waitcnt vmcnt(0) lgkmcnt(7)
	ds_write_b32 v31, v14 offset:14336
	s_waitcnt lgkmcnt(0)
	s_barrier
	buffer_gl0_inv
	ds_read2_b32 v[13:14], v41 offset1:1
	ds_read2_b32 v[15:16], v41 offset0:2 offset1:3
	ds_read2_b32 v[31:32], v41 offset0:4 offset1:5
	;; [unrolled: 1-line block ×6, first 2 shown]
	ds_read_b32 v65, v41 offset:56
	s_andn2_b32 vcc_lo, exec_lo, s2
	s_add_i32 s26, s26, s36
	s_cbranch_vccz .LBB104_7
	s_branch .LBB104_54
.LBB104_6:
                                        ; implicit-def: $vgpr65
                                        ; implicit-def: $vgpr10
                                        ; implicit-def: $vgpr12
                                        ; implicit-def: $vgpr36
                                        ; implicit-def: $vgpr34
                                        ; implicit-def: $vgpr32
                                        ; implicit-def: $vgpr16
                                        ; implicit-def: $vgpr14
                                        ; implicit-def: $vgpr29
                                        ; implicit-def: $vgpr27
                                        ; implicit-def: $vgpr25
                                        ; implicit-def: $vgpr23
                                        ; implicit-def: $vgpr21
                                        ; implicit-def: $vgpr19
                                        ; implicit-def: $vgpr17
                                        ; implicit-def: $vgpr58
	s_add_i32 s26, s26, s36
.LBB104_7:
	v_cmp_gt_u32_e64 s15, s26, v0
                                        ; implicit-def: $vgpr1
	s_and_saveexec_b32 s2, s15
	s_cbranch_execz .LBB104_9
; %bb.8:
	v_lshlrev_b32_e32 v1, 2, v0
	v_add_co_u32 v1, vcc_lo, v40, v1
	v_add_co_ci_u32_e64 v2, null, 0, v38, vcc_lo
	flat_load_dword v1, v[1:2]
.LBB104_9:
	s_or_b32 exec_lo, exec_lo, s2
	v_or_b32_e32 v2, 0x100, v0
	v_cmp_gt_u32_e64 s14, s26, v2
                                        ; implicit-def: $vgpr2
	s_and_saveexec_b32 s2, s14
	s_cbranch_execz .LBB104_11
; %bb.10:
	v_lshlrev_b32_e32 v2, 2, v0
	v_add_co_u32 v2, vcc_lo, v40, v2
	v_add_co_ci_u32_e64 v3, null, 0, v38, vcc_lo
	flat_load_dword v2, v[2:3] offset:1024
.LBB104_11:
	s_or_b32 exec_lo, exec_lo, s2
	v_or_b32_e32 v3, 0x200, v0
	v_cmp_gt_u32_e64 s13, s26, v3
	v_lshlrev_b32_e32 v48, 2, v3
                                        ; implicit-def: $vgpr3
	s_and_saveexec_b32 s2, s13
	s_cbranch_execz .LBB104_13
; %bb.12:
	v_add_co_u32 v3, vcc_lo, v40, v48
	v_add_co_ci_u32_e64 v4, null, 0, v38, vcc_lo
	flat_load_dword v3, v[3:4]
.LBB104_13:
	s_or_b32 exec_lo, exec_lo, s2
	v_or_b32_e32 v4, 0x300, v0
	v_cmp_gt_u32_e64 s12, s26, v4
	v_lshlrev_b32_e32 v47, 2, v4
                                        ; implicit-def: $vgpr4
	s_and_saveexec_b32 s2, s12
	s_cbranch_execz .LBB104_15
; %bb.14:
	v_add_co_u32 v4, vcc_lo, v40, v47
	v_add_co_ci_u32_e64 v5, null, 0, v38, vcc_lo
	flat_load_dword v4, v[4:5]
.LBB104_15:
	s_or_b32 exec_lo, exec_lo, s2
	v_or_b32_e32 v5, 0x400, v0
	v_cmp_gt_u32_e64 s11, s26, v5
	v_lshlrev_b32_e32 v46, 2, v5
                                        ; implicit-def: $vgpr5
	s_and_saveexec_b32 s2, s11
	s_cbranch_execz .LBB104_17
; %bb.16:
	v_add_co_u32 v5, vcc_lo, v40, v46
	v_add_co_ci_u32_e64 v6, null, 0, v38, vcc_lo
	flat_load_dword v5, v[5:6]
.LBB104_17:
	s_or_b32 exec_lo, exec_lo, s2
	v_or_b32_e32 v6, 0x500, v0
	v_cmp_gt_u32_e64 s10, s26, v6
	v_lshlrev_b32_e32 v45, 2, v6
                                        ; implicit-def: $vgpr6
	s_and_saveexec_b32 s2, s10
	s_cbranch_execz .LBB104_19
; %bb.18:
	v_add_co_u32 v6, vcc_lo, v40, v45
	v_add_co_ci_u32_e64 v7, null, 0, v38, vcc_lo
	flat_load_dword v6, v[6:7]
.LBB104_19:
	s_or_b32 exec_lo, exec_lo, s2
	v_or_b32_e32 v7, 0x600, v0
	v_cmp_gt_u32_e64 s9, s26, v7
	v_lshlrev_b32_e32 v44, 2, v7
                                        ; implicit-def: $vgpr7
	s_and_saveexec_b32 s2, s9
	s_cbranch_execz .LBB104_21
; %bb.20:
	v_add_co_u32 v7, vcc_lo, v40, v44
	v_add_co_ci_u32_e64 v8, null, 0, v38, vcc_lo
	flat_load_dword v7, v[7:8]
.LBB104_21:
	s_or_b32 exec_lo, exec_lo, s2
	v_or_b32_e32 v8, 0x700, v0
	v_cmp_gt_u32_e64 s8, s26, v8
	v_lshlrev_b32_e32 v43, 2, v8
                                        ; implicit-def: $vgpr8
	s_and_saveexec_b32 s2, s8
	s_cbranch_execz .LBB104_23
; %bb.22:
	v_add_co_u32 v8, vcc_lo, v40, v43
	s_waitcnt lgkmcnt(1)
	v_add_co_ci_u32_e64 v9, null, 0, v38, vcc_lo
	flat_load_dword v8, v[8:9]
.LBB104_23:
	s_or_b32 exec_lo, exec_lo, s2
	s_waitcnt lgkmcnt(1)
	v_or_b32_e32 v9, 0x800, v0
	v_cmp_gt_u32_e64 s7, s26, v9
	v_lshlrev_b32_e32 v42, 2, v9
                                        ; implicit-def: $vgpr9
	s_and_saveexec_b32 s2, s7
	s_cbranch_execz .LBB104_25
; %bb.24:
	v_add_co_u32 v9, vcc_lo, v40, v42
	v_add_co_ci_u32_e64 v10, null, 0, v38, vcc_lo
	flat_load_dword v9, v[9:10]
.LBB104_25:
	s_or_b32 exec_lo, exec_lo, s2
	v_or_b32_e32 v10, 0x900, v0
	v_cmp_gt_u32_e64 s6, s26, v10
	v_lshlrev_b32_e32 v41, 2, v10
                                        ; implicit-def: $vgpr10
	s_and_saveexec_b32 s2, s6
	s_cbranch_execz .LBB104_27
; %bb.26:
	v_add_co_u32 v10, vcc_lo, v40, v41
	v_add_co_ci_u32_e64 v11, null, 0, v38, vcc_lo
	flat_load_dword v10, v[10:11]
.LBB104_27:
	s_or_b32 exec_lo, exec_lo, s2
	v_or_b32_e32 v11, 0xa00, v0
	v_cmp_gt_u32_e64 s5, s26, v11
	v_lshlrev_b32_e32 v36, 2, v11
                                        ; implicit-def: $vgpr11
	s_and_saveexec_b32 s2, s5
	s_cbranch_execz .LBB104_29
; %bb.28:
	v_add_co_u32 v11, vcc_lo, v40, v36
	v_add_co_ci_u32_e64 v12, null, 0, v38, vcc_lo
	flat_load_dword v11, v[11:12]
.LBB104_29:
	s_or_b32 exec_lo, exec_lo, s2
	v_or_b32_e32 v12, 0xb00, v0
	v_cmp_gt_u32_e64 s4, s26, v12
	v_lshlrev_b32_e32 v35, 2, v12
                                        ; implicit-def: $vgpr12
	s_and_saveexec_b32 s2, s4
	s_cbranch_execz .LBB104_31
; %bb.30:
	v_add_co_u32 v12, vcc_lo, v40, v35
	v_add_co_ci_u32_e64 v13, null, 0, v38, vcc_lo
	flat_load_dword v12, v[12:13]
.LBB104_31:
	s_or_b32 exec_lo, exec_lo, s2
	v_or_b32_e32 v13, 0xc00, v0
	v_cmp_gt_u32_e64 s3, s26, v13
	v_lshlrev_b32_e32 v34, 2, v13
                                        ; implicit-def: $vgpr13
	s_and_saveexec_b32 s2, s3
	s_cbranch_execz .LBB104_33
; %bb.32:
	v_add_co_u32 v13, vcc_lo, v40, v34
	v_add_co_ci_u32_e64 v14, null, 0, v38, vcc_lo
	flat_load_dword v13, v[13:14]
.LBB104_33:
	s_or_b32 exec_lo, exec_lo, s2
	v_or_b32_e32 v14, 0xd00, v0
	v_cmp_gt_u32_e64 s2, s26, v14
	v_lshlrev_b32_e32 v33, 2, v14
                                        ; implicit-def: $vgpr14
	s_and_saveexec_b32 s16, s2
	s_cbranch_execz .LBB104_35
; %bb.34:
	v_add_co_u32 v14, vcc_lo, v40, v33
	v_add_co_ci_u32_e64 v15, null, 0, v38, vcc_lo
	flat_load_dword v14, v[14:15]
.LBB104_35:
	s_or_b32 exec_lo, exec_lo, s16
	v_or_b32_e32 v15, 0xe00, v0
	v_cmp_gt_u32_e32 vcc_lo, s26, v15
	v_lshlrev_b32_e32 v32, 2, v15
                                        ; implicit-def: $vgpr15
	s_and_saveexec_b32 s27, vcc_lo
	s_cbranch_execz .LBB104_37
; %bb.36:
	v_add_co_u32 v15, s16, v40, v32
	v_add_co_ci_u32_e64 v16, null, 0, v38, s16
	flat_load_dword v15, v[15:16]
.LBB104_37:
	s_or_b32 exec_lo, exec_lo, s27
	v_lshlrev_b32_e32 v31, 2, v0
	s_waitcnt vmcnt(0) lgkmcnt(0)
	ds_write2st64_b32 v31, v1, v2 offset1:4
	ds_write2st64_b32 v31, v3, v4 offset0:8 offset1:12
	ds_write2st64_b32 v31, v5, v6 offset0:16 offset1:20
	;; [unrolled: 1-line block ×6, first 2 shown]
	v_mad_u32_u24 v2, v0, 56, v31
	ds_write_b32 v31, v15 offset:14336
	s_waitcnt lgkmcnt(0)
	s_barrier
	buffer_gl0_inv
	ds_read2_b32 v[29:30], v2 offset1:1
	ds_read2_b32 v[27:28], v2 offset0:2 offset1:3
	ds_read2_b32 v[25:26], v2 offset0:4 offset1:5
	;; [unrolled: 1-line block ×6, first 2 shown]
	ds_read_b32 v58, v2 offset:56
	v_mov_b32_e32 v1, 0
	s_waitcnt lgkmcnt(0)
	s_barrier
	buffer_gl0_inv
	v_mov_b32_e32 v2, v1
	v_mov_b32_e32 v3, v1
	;; [unrolled: 1-line block ×14, first 2 shown]
	s_and_saveexec_b32 s16, s15
	s_cbranch_execnz .LBB104_60
; %bb.38:
	s_or_b32 exec_lo, exec_lo, s16
	s_and_saveexec_b32 s15, s14
	s_cbranch_execnz .LBB104_61
.LBB104_39:
	s_or_b32 exec_lo, exec_lo, s15
	s_and_saveexec_b32 s14, s13
	s_cbranch_execnz .LBB104_62
.LBB104_40:
	s_or_b32 exec_lo, exec_lo, s14
	s_and_saveexec_b32 s13, s12
	s_cbranch_execnz .LBB104_63
.LBB104_41:
	s_or_b32 exec_lo, exec_lo, s13
	s_and_saveexec_b32 s12, s11
	s_cbranch_execnz .LBB104_64
.LBB104_42:
	s_or_b32 exec_lo, exec_lo, s12
	s_and_saveexec_b32 s11, s10
	s_cbranch_execnz .LBB104_65
.LBB104_43:
	s_or_b32 exec_lo, exec_lo, s11
	s_and_saveexec_b32 s10, s9
	s_cbranch_execnz .LBB104_66
.LBB104_44:
	s_or_b32 exec_lo, exec_lo, s10
	s_and_saveexec_b32 s9, s8
	s_cbranch_execnz .LBB104_67
.LBB104_45:
	s_or_b32 exec_lo, exec_lo, s9
	s_and_saveexec_b32 s8, s7
	s_cbranch_execnz .LBB104_68
.LBB104_46:
	s_or_b32 exec_lo, exec_lo, s8
	s_and_saveexec_b32 s7, s6
	s_cbranch_execnz .LBB104_69
.LBB104_47:
	s_or_b32 exec_lo, exec_lo, s7
	s_and_saveexec_b32 s6, s5
	s_cbranch_execnz .LBB104_70
.LBB104_48:
	s_or_b32 exec_lo, exec_lo, s6
	s_and_saveexec_b32 s5, s4
	s_cbranch_execnz .LBB104_71
.LBB104_49:
	s_or_b32 exec_lo, exec_lo, s5
	s_and_saveexec_b32 s4, s3
	s_cbranch_execnz .LBB104_72
.LBB104_50:
	s_or_b32 exec_lo, exec_lo, s4
	s_and_saveexec_b32 s3, s2
	s_cbranch_execnz .LBB104_73
.LBB104_51:
	s_or_b32 exec_lo, exec_lo, s3
	v_mul_u32_u24_e32 v16, 56, v0
	s_and_saveexec_b32 s2, vcc_lo
	s_cbranch_execz .LBB104_53
.LBB104_52:
	v_add_co_u32 v32, vcc_lo, v37, v32
	v_add_co_ci_u32_e64 v33, null, 0, v39, vcc_lo
	flat_load_dword v15, v[32:33]
.LBB104_53:
	s_or_b32 exec_lo, exec_lo, s2
	s_waitcnt vmcnt(0) lgkmcnt(0)
	ds_write2st64_b32 v31, v1, v2 offset1:4
	ds_write2st64_b32 v31, v3, v4 offset0:8 offset1:12
	ds_write2st64_b32 v31, v5, v6 offset0:16 offset1:20
	;; [unrolled: 1-line block ×6, first 2 shown]
	v_add_nc_u32_e32 v1, v31, v16
	ds_write_b32 v31, v15 offset:14336
	s_waitcnt lgkmcnt(0)
	s_barrier
	buffer_gl0_inv
	ds_read2_b32 v[13:14], v1 offset1:1
	ds_read2_b32 v[15:16], v1 offset0:2 offset1:3
	ds_read2_b32 v[31:32], v1 offset0:4 offset1:5
	;; [unrolled: 1-line block ×6, first 2 shown]
	ds_read_b32 v65, v1 offset:56
.LBB104_54:
	s_cmp_eq_u64 s[24:25], 0
	s_waitcnt lgkmcnt(0)
	s_cselect_b32 s27, -1, 0
	s_cmp_lg_u64 s[24:25], 0
	s_barrier
	s_cselect_b32 s16, -1, 0
	s_and_b32 vcc_lo, exec_lo, s40
	buffer_gl0_inv
	s_cbranch_vccz .LBB104_59
; %bb.55:
	s_and_b32 vcc_lo, exec_lo, s16
	s_cbranch_vccz .LBB104_74
; %bb.56:
	v_add_co_u32 v1, vcc_lo, -4, v40
	v_add_co_ci_u32_e64 v2, null, -1, v38, vcc_lo
	v_cmp_ne_u32_e64 s2, v17, v18
	v_cmp_ne_u32_e64 s3, v20, v17
	;; [unrolled: 1-line block ×3, first 2 shown]
	flat_load_dword v1, v[1:2]
	v_lshlrev_b32_e32 v2, 2, v0
	v_cmp_ne_u32_e64 s5, v22, v19
	v_cmp_ne_u32_e64 s6, v21, v22
	;; [unrolled: 1-line block ×10, first 2 shown]
	s_mov_b32 s40, -1
	v_cmp_ne_u32_e32 vcc_lo, v18, v58
	ds_write_b32 v2, v58
	s_waitcnt vmcnt(0) lgkmcnt(0)
	s_barrier
	buffer_gl0_inv
	s_and_saveexec_b32 s15, s1
; %bb.57:
	v_add_nc_u32_e32 v1, -4, v2
	ds_read_b32 v1, v1
; %bb.58:
	s_or_b32 exec_lo, exec_lo, s15
	v_cndmask_b32_e64 v61, 0, 1, vcc_lo
	v_cndmask_b32_e64 v44, 0, 1, s2
	v_cndmask_b32_e64 v46, 0, 1, s3
	;; [unrolled: 1-line block ×13, first 2 shown]
	s_waitcnt lgkmcnt(0)
	v_cmp_ne_u32_e64 s15, v1, v29
	s_branch .LBB104_78
.LBB104_59:
	s_mov_b32 s40, 0
                                        ; implicit-def: $sgpr15
                                        ; implicit-def: $vgpr61
                                        ; implicit-def: $vgpr44
                                        ; implicit-def: $vgpr46
                                        ; implicit-def: $vgpr48
                                        ; implicit-def: $vgpr50
                                        ; implicit-def: $vgpr52
                                        ; implicit-def: $vgpr54
                                        ; implicit-def: $vgpr59
                                        ; implicit-def: $vgpr60
                                        ; implicit-def: $vgpr62
                                        ; implicit-def: $vgpr63
                                        ; implicit-def: $vgpr56
                                        ; implicit-def: $vgpr57
                                        ; implicit-def: $vgpr64
	s_cbranch_execnz .LBB104_79
	s_branch .LBB104_87
.LBB104_60:
	v_add_co_u32 v2, s15, v37, v31
	v_add_co_ci_u32_e64 v3, null, 0, v39, s15
	v_mov_b32_e32 v4, v1
	v_mov_b32_e32 v5, v1
	;; [unrolled: 1-line block ×3, first 2 shown]
	flat_load_dword v2, v[2:3]
	v_mov_b32_e32 v3, v1
	v_mov_b32_e32 v7, v1
	;; [unrolled: 1-line block ×11, first 2 shown]
	s_waitcnt vmcnt(0) lgkmcnt(0)
	v_mov_b32_e32 v1, v2
	v_mov_b32_e32 v2, v3
	;; [unrolled: 1-line block ×16, first 2 shown]
	s_or_b32 exec_lo, exec_lo, s16
	s_and_saveexec_b32 s15, s14
	s_cbranch_execz .LBB104_39
.LBB104_61:
	v_add_co_u32 v49, s14, v37, v31
	v_add_co_ci_u32_e64 v50, null, 0, v39, s14
	flat_load_dword v2, v[49:50] offset:1024
	s_or_b32 exec_lo, exec_lo, s15
	s_and_saveexec_b32 s14, s13
	s_cbranch_execz .LBB104_40
.LBB104_62:
	v_add_co_u32 v48, s13, v37, v48
	v_add_co_ci_u32_e64 v49, null, 0, v39, s13
	flat_load_dword v3, v[48:49]
	s_or_b32 exec_lo, exec_lo, s14
	s_and_saveexec_b32 s13, s12
	s_cbranch_execz .LBB104_41
.LBB104_63:
	v_add_co_u32 v47, s12, v37, v47
	v_add_co_ci_u32_e64 v48, null, 0, v39, s12
	flat_load_dword v4, v[47:48]
	s_or_b32 exec_lo, exec_lo, s13
	s_and_saveexec_b32 s12, s11
	s_cbranch_execz .LBB104_42
.LBB104_64:
	v_add_co_u32 v46, s11, v37, v46
	v_add_co_ci_u32_e64 v47, null, 0, v39, s11
	flat_load_dword v5, v[46:47]
	s_or_b32 exec_lo, exec_lo, s12
	s_and_saveexec_b32 s11, s10
	s_cbranch_execz .LBB104_43
.LBB104_65:
	v_add_co_u32 v45, s10, v37, v45
	v_add_co_ci_u32_e64 v46, null, 0, v39, s10
	flat_load_dword v6, v[45:46]
	s_or_b32 exec_lo, exec_lo, s11
	s_and_saveexec_b32 s10, s9
	s_cbranch_execz .LBB104_44
.LBB104_66:
	v_add_co_u32 v44, s9, v37, v44
	v_add_co_ci_u32_e64 v45, null, 0, v39, s9
	flat_load_dword v7, v[44:45]
	s_or_b32 exec_lo, exec_lo, s10
	s_and_saveexec_b32 s9, s8
	s_cbranch_execz .LBB104_45
.LBB104_67:
	v_add_co_u32 v43, s8, v37, v43
	v_add_co_ci_u32_e64 v44, null, 0, v39, s8
	flat_load_dword v8, v[43:44]
	s_or_b32 exec_lo, exec_lo, s9
	s_and_saveexec_b32 s8, s7
	s_cbranch_execz .LBB104_46
.LBB104_68:
	v_add_co_u32 v42, s7, v37, v42
	v_add_co_ci_u32_e64 v43, null, 0, v39, s7
	flat_load_dword v9, v[42:43]
	s_or_b32 exec_lo, exec_lo, s8
	s_and_saveexec_b32 s7, s6
	s_cbranch_execz .LBB104_47
.LBB104_69:
	v_add_co_u32 v41, s6, v37, v41
	v_add_co_ci_u32_e64 v42, null, 0, v39, s6
	flat_load_dword v10, v[41:42]
	s_or_b32 exec_lo, exec_lo, s7
	s_and_saveexec_b32 s6, s5
	s_cbranch_execz .LBB104_48
.LBB104_70:
	v_add_co_u32 v41, s5, v37, v36
	v_add_co_ci_u32_e64 v42, null, 0, v39, s5
	flat_load_dword v11, v[41:42]
	s_or_b32 exec_lo, exec_lo, s6
	s_and_saveexec_b32 s5, s4
	s_cbranch_execz .LBB104_49
.LBB104_71:
	v_add_co_u32 v35, s4, v37, v35
	v_add_co_ci_u32_e64 v36, null, 0, v39, s4
	flat_load_dword v12, v[35:36]
	s_or_b32 exec_lo, exec_lo, s5
	s_and_saveexec_b32 s4, s3
	s_cbranch_execz .LBB104_50
.LBB104_72:
	v_add_co_u32 v34, s3, v37, v34
	v_add_co_ci_u32_e64 v35, null, 0, v39, s3
	flat_load_dword v13, v[34:35]
	s_or_b32 exec_lo, exec_lo, s4
	s_and_saveexec_b32 s3, s2
	s_cbranch_execz .LBB104_51
.LBB104_73:
	v_add_co_u32 v33, s2, v37, v33
	v_add_co_ci_u32_e64 v34, null, 0, v39, s2
	flat_load_dword v14, v[33:34]
	s_or_b32 exec_lo, exec_lo, s3
	v_mul_u32_u24_e32 v16, 56, v0
	s_and_saveexec_b32 s2, vcc_lo
	s_cbranch_execnz .LBB104_52
	s_branch .LBB104_53
.LBB104_74:
	s_mov_b32 s40, 0
                                        ; implicit-def: $sgpr15
                                        ; implicit-def: $vgpr61
                                        ; implicit-def: $vgpr44
                                        ; implicit-def: $vgpr46
                                        ; implicit-def: $vgpr48
                                        ; implicit-def: $vgpr50
                                        ; implicit-def: $vgpr52
                                        ; implicit-def: $vgpr54
                                        ; implicit-def: $vgpr59
                                        ; implicit-def: $vgpr60
                                        ; implicit-def: $vgpr62
                                        ; implicit-def: $vgpr63
                                        ; implicit-def: $vgpr56
                                        ; implicit-def: $vgpr57
                                        ; implicit-def: $vgpr64
	s_cbranch_execz .LBB104_78
; %bb.75:
	v_lshlrev_b32_e32 v1, 2, v0
	v_cmp_ne_u32_e64 s2, v17, v18
	v_cmp_ne_u32_e64 s3, v20, v17
	;; [unrolled: 1-line block ×13, first 2 shown]
	v_cmp_ne_u32_e32 vcc_lo, v18, v58
	ds_write_b32 v1, v58
	s_waitcnt lgkmcnt(0)
	s_barrier
	buffer_gl0_inv
                                        ; implicit-def: $sgpr15
	s_and_saveexec_b32 s41, s1
	s_xor_b32 s41, exec_lo, s41
	s_cbranch_execz .LBB104_77
; %bb.76:
	v_add_nc_u32_e32 v1, -4, v1
	s_or_b32 s40, s40, exec_lo
	ds_read_b32 v1, v1
	s_waitcnt lgkmcnt(0)
	v_cmp_ne_u32_e64 s15, v1, v29
.LBB104_77:
	s_or_b32 exec_lo, exec_lo, s41
	v_cndmask_b32_e64 v61, 0, 1, vcc_lo
	v_cndmask_b32_e64 v44, 0, 1, s2
	v_cndmask_b32_e64 v46, 0, 1, s3
	;; [unrolled: 1-line block ×13, first 2 shown]
.LBB104_78:
	s_branch .LBB104_87
.LBB104_79:
	s_mul_hi_u32 s2, s24, 0xfffff100
	s_mul_i32 s3, s25, 0xfffff100
	s_sub_i32 s2, s2, s24
	s_mul_i32 s4, s24, 0xfffff100
	s_add_i32 s2, s2, s3
	s_add_u32 s24, s4, s36
	s_addc_u32 s25, s2, s37
	v_cmp_ne_u32_e64 s14, v18, v58
	v_cmp_ne_u32_e64 s15, v17, v18
	;; [unrolled: 1-line block ×14, first 2 shown]
	v_mad_u32_u24 v1, v0, 15, 14
	v_mad_u32_u24 v55, v0, 15, 13
	;; [unrolled: 1-line block ×14, first 2 shown]
	s_and_b32 vcc_lo, exec_lo, s16
	s_cbranch_vccz .LBB104_83
; %bb.80:
	v_add_co_u32 v56, vcc_lo, -4, v40
	v_add_co_ci_u32_e64 v57, null, -1, v38, vcc_lo
	v_mov_b32_e32 v2, 0
	s_mov_b32 s40, -1
	flat_load_dword v64, v[56:57]
	v_lshlrev_b32_e32 v57, 2, v0
	v_cmp_gt_u64_e32 vcc_lo, s[24:25], v[1:2]
	v_mov_b32_e32 v56, v2
	v_mov_b32_e32 v54, v2
	;; [unrolled: 1-line block ×5, first 2 shown]
	v_cmp_gt_u64_e64 s16, s[24:25], v[55:56]
	s_and_b32 s36, vcc_lo, s14
	v_cmp_gt_u64_e32 vcc_lo, s[24:25], v[53:54]
	v_mov_b32_e32 v46, v2
	v_mov_b32_e32 v44, v2
	v_cmp_gt_u64_e64 s14, s[24:25], v[51:52]
	s_and_b32 s37, s16, s15
	v_mov_b32_e32 v42, v2
	s_and_b32 s41, vcc_lo, s13
	v_cmp_gt_u64_e32 vcc_lo, s[24:25], v[49:50]
	v_cmp_gt_u64_e64 s13, s[24:25], v[47:48]
	v_cmp_gt_u64_e64 s15, s[24:25], v[45:46]
	;; [unrolled: 1-line block ×3, first 2 shown]
	v_mov_b32_e32 v40, v2
	v_mov_b32_e32 v38, v2
	;; [unrolled: 1-line block ×5, first 2 shown]
	s_and_b32 s14, s14, s12
	s_and_b32 s42, vcc_lo, s8
	s_and_b32 s43, s13, s9
	s_and_b32 s15, s15, s10
	;; [unrolled: 1-line block ×3, first 2 shown]
	v_cmp_gt_u64_e32 vcc_lo, s[24:25], v[41:42]
	v_cmp_gt_u64_e64 s8, s[24:25], v[39:40]
	v_cmp_gt_u64_e64 s9, s[24:25], v[37:38]
	;; [unrolled: 1-line block ×5, first 2 shown]
	v_mul_u32_u24_e32 v56, 15, v0
	s_and_b32 s2, vcc_lo, s2
	s_and_b32 s8, s8, s3
	s_and_b32 s9, s9, s4
	;; [unrolled: 1-line block ×5, first 2 shown]
	ds_write_b32 v57, v58
	s_waitcnt vmcnt(0) lgkmcnt(0)
	s_barrier
	buffer_gl0_inv
	s_and_saveexec_b32 s6, s1
; %bb.81:
	v_add_nc_u32_e32 v4, -4, v57
	ds_read_b32 v64, v4
; %bb.82:
	s_or_b32 exec_lo, exec_lo, s6
	v_mov_b32_e32 v57, v2
	v_cndmask_b32_e64 v60, 0, 1, s2
	s_waitcnt lgkmcnt(0)
	v_cmp_ne_u32_e64 s2, v64, v29
	v_cndmask_b32_e64 v61, 0, 1, s36
	v_cndmask_b32_e64 v44, 0, 1, s37
	v_cmp_gt_u64_e32 vcc_lo, s[24:25], v[56:57]
	v_cndmask_b32_e64 v46, 0, 1, s41
	v_cndmask_b32_e64 v48, 0, 1, s14
	;; [unrolled: 1-line block ×11, first 2 shown]
	s_and_b32 s15, vcc_lo, s2
	s_branch .LBB104_87
.LBB104_83:
                                        ; implicit-def: $sgpr15
                                        ; implicit-def: $vgpr61
                                        ; implicit-def: $vgpr44
                                        ; implicit-def: $vgpr46
                                        ; implicit-def: $vgpr48
                                        ; implicit-def: $vgpr50
                                        ; implicit-def: $vgpr52
                                        ; implicit-def: $vgpr54
                                        ; implicit-def: $vgpr59
                                        ; implicit-def: $vgpr60
                                        ; implicit-def: $vgpr62
                                        ; implicit-def: $vgpr63
                                        ; implicit-def: $vgpr56
                                        ; implicit-def: $vgpr57
                                        ; implicit-def: $vgpr64
	s_cbranch_execz .LBB104_87
; %bb.84:
	v_mov_b32_e32 v2, 0
	v_cmp_ne_u32_e32 vcc_lo, v18, v58
	v_cmp_ne_u32_e64 s2, v17, v18
	v_cmp_ne_u32_e64 s3, v20, v17
	;; [unrolled: 1-line block ×3, first 2 shown]
	v_mov_b32_e32 v56, v2
	v_mov_b32_e32 v54, v2
	v_cmp_gt_u64_e64 s4, s[24:25], v[1:2]
	v_mov_b32_e32 v52, v2
	v_mov_b32_e32 v50, v2
	v_cmp_gt_u64_e64 s5, s[24:25], v[55:56]
	v_cmp_gt_u64_e64 s6, s[24:25], v[53:54]
	v_mov_b32_e32 v48, v2
	s_and_b32 s11, s4, vcc_lo
	v_cmp_gt_u64_e32 vcc_lo, s[24:25], v[51:52]
	v_cmp_ne_u32_e64 s4, v22, v19
	s_and_b32 s12, s5, s2
	s_and_b32 s13, s6, s3
	v_cmp_gt_u64_e64 s3, s[24:25], v[49:50]
	v_cmp_gt_u64_e64 s5, s[24:25], v[47:48]
	v_cmp_ne_u32_e64 s2, v19, v20
	v_cmp_ne_u32_e64 s6, v21, v22
	v_mov_b32_e32 v46, v2
	v_mov_b32_e32 v44, v2
	;; [unrolled: 1-line block ×3, first 2 shown]
	s_and_b32 s14, vcc_lo, s2
	s_and_b32 s16, s3, s4
	s_and_b32 s36, s5, s6
	v_cmp_gt_u64_e32 vcc_lo, s[24:25], v[45:46]
	v_cmp_gt_u64_e64 s3, s[24:25], v[43:44]
	v_cmp_gt_u64_e64 s5, s[24:25], v[41:42]
	v_cmp_ne_u32_e64 s2, v24, v21
	v_cmp_ne_u32_e64 s4, v23, v24
	;; [unrolled: 1-line block ×3, first 2 shown]
	v_mov_b32_e32 v40, v2
	v_mov_b32_e32 v38, v2
	;; [unrolled: 1-line block ×5, first 2 shown]
	s_and_b32 s37, vcc_lo, s2
	s_and_b32 s41, s3, s4
	s_and_b32 s42, s5, s6
	v_cmp_gt_u64_e32 vcc_lo, s[24:25], v[39:40]
	v_cmp_gt_u64_e64 s3, s[24:25], v[37:38]
	v_cmp_gt_u64_e64 s5, s[24:25], v[7:8]
	;; [unrolled: 1-line block ×4, first 2 shown]
	v_cmp_ne_u32_e64 s2, v25, v26
	v_cmp_ne_u32_e64 s4, v28, v25
	;; [unrolled: 1-line block ×4, first 2 shown]
	v_lshlrev_b32_e32 v57, 2, v0
	s_and_b32 s2, vcc_lo, s2
	s_and_b32 s3, s3, s4
	s_and_b32 s4, s5, s6
	;; [unrolled: 1-line block ×4, first 2 shown]
	ds_write_b32 v57, v58
	s_waitcnt lgkmcnt(0)
	s_barrier
	buffer_gl0_inv
                                        ; implicit-def: $sgpr15
	s_and_saveexec_b32 s7, s1
	s_cbranch_execz .LBB104_86
; %bb.85:
	v_add_nc_u32_e32 v1, -4, v57
	s_or_b32 s40, s40, exec_lo
	ds_read_b32 v3, v1
	v_mul_u32_u24_e32 v1, 15, v0
	v_cmp_gt_u64_e32 vcc_lo, s[24:25], v[1:2]
	s_waitcnt lgkmcnt(0)
	v_cmp_ne_u32_e64 s1, v3, v29
	s_and_b32 s15, vcc_lo, s1
.LBB104_86:
	s_or_b32 exec_lo, exec_lo, s7
	v_cndmask_b32_e64 v61, 0, 1, s11
	v_cndmask_b32_e64 v44, 0, 1, s12
	;; [unrolled: 1-line block ×14, first 2 shown]
.LBB104_87:
	v_mov_b32_e32 v43, 1
	s_and_saveexec_b32 s1, s40
; %bb.88:
	v_cndmask_b32_e64 v43, 0, 1, s15
; %bb.89:
	s_or_b32 exec_lo, exec_lo, s1
	v_add3_u32 v1, v64, v43, v57
	v_add_f32_e32 v74, v13, v14
	v_cmp_eq_u32_e64 s13, 0, v64
	v_cmp_eq_u32_e64 s12, 0, v57
	;; [unrolled: 1-line block ×3, first 2 shown]
	v_add3_u32 v73, v1, v56, v63
	v_cmp_eq_u32_e64 s11, 0, v63
	v_cmp_eq_u32_e64 s9, 0, v62
	;; [unrolled: 1-line block ×10, first 2 shown]
	v_mbcnt_lo_u32_b32 v70, -1, 0
	v_lshrrev_b32_e32 v71, 5, v0
	v_or_b32_e32 v72, 31, v0
	s_cmp_eq_u64 s[22:23], 0
	v_cmp_eq_u32_e32 vcc_lo, 0, v61
	s_cselect_b32 s16, -1, 0
	s_cmp_lg_u32 s33, 0
	s_cbranch_scc0 .LBB104_111
; %bb.90:
	v_cndmask_b32_e64 v1, v14, v74, s13
	v_add3_u32 v2, v73, v62, v60
	v_and_b32_e32 v4, 15, v70
	v_and_b32_e32 v6, 16, v70
	s_mov_b32 s15, exec_lo
	v_add_f32_e32 v1, v15, v1
	v_add3_u32 v2, v2, v59, v54
	v_cndmask_b32_e64 v1, v15, v1, s12
	v_add3_u32 v2, v2, v52, v50
	v_add_f32_e32 v1, v16, v1
	v_add3_u32 v2, v2, v48, v46
	v_cndmask_b32_e64 v1, v16, v1, s10
	v_add3_u32 v2, v2, v44, v61
	v_add_f32_e32 v1, v31, v1
	v_mov_b32_dpp v5, v2 row_shr:1 row_mask:0xf bank_mask:0xf
	v_cndmask_b32_e64 v1, v31, v1, s11
	v_add_f32_e32 v1, v32, v1
	v_cndmask_b32_e64 v1, v32, v1, s9
	v_add_f32_e32 v1, v33, v1
	;; [unrolled: 2-line block ×10, first 2 shown]
	v_cndmask_b32_e32 v1, v65, v1, vcc_lo
	v_cmp_eq_u32_e32 vcc_lo, 0, v2
	v_mov_b32_dpp v3, v1 row_shr:1 row_mask:0xf bank_mask:0xf
	v_add_f32_e32 v3, v1, v3
	v_cndmask_b32_e32 v3, v1, v3, vcc_lo
	v_cmp_eq_u32_e32 vcc_lo, 0, v4
	v_cndmask_b32_e64 v5, v5, 0, vcc_lo
	v_cndmask_b32_e32 v1, v3, v1, vcc_lo
	v_add_nc_u32_e32 v2, v5, v2
	v_mov_b32_dpp v3, v1 row_shr:2 row_mask:0xf bank_mask:0xf
	v_cmp_eq_u32_e32 vcc_lo, 0, v2
	v_add_f32_e32 v3, v1, v3
	v_mov_b32_dpp v5, v2 row_shr:2 row_mask:0xf bank_mask:0xf
	v_cndmask_b32_e32 v3, v1, v3, vcc_lo
	v_cmp_lt_u32_e32 vcc_lo, 1, v4
	v_cndmask_b32_e32 v1, v1, v3, vcc_lo
	v_cndmask_b32_e32 v3, 0, v5, vcc_lo
	v_mov_b32_dpp v5, v1 row_shr:4 row_mask:0xf bank_mask:0xf
	v_add_nc_u32_e32 v2, v2, v3
	v_add_f32_e32 v3, v1, v5
	v_cmp_eq_u32_e32 vcc_lo, 0, v2
	v_mov_b32_dpp v5, v2 row_shr:4 row_mask:0xf bank_mask:0xf
	v_cndmask_b32_e32 v3, v1, v3, vcc_lo
	v_cmp_lt_u32_e32 vcc_lo, 3, v4
	v_cndmask_b32_e32 v1, v1, v3, vcc_lo
	v_cndmask_b32_e32 v3, 0, v5, vcc_lo
	v_mov_b32_dpp v5, v1 row_shr:8 row_mask:0xf bank_mask:0xf
	v_add_nc_u32_e32 v3, v3, v2
	v_add_f32_e32 v2, v1, v5
	v_cmp_eq_u32_e32 vcc_lo, 0, v3
	v_mov_b32_dpp v5, v3 row_shr:8 row_mask:0xf bank_mask:0xf
	v_cndmask_b32_e32 v2, v1, v2, vcc_lo
	v_cmp_lt_u32_e32 vcc_lo, 7, v4
	v_cndmask_b32_e32 v2, v1, v2, vcc_lo
	v_cndmask_b32_e32 v1, 0, v5, vcc_lo
	v_bfe_i32 v5, v70, 4, 1
	v_add_nc_u32_e32 v1, v1, v3
	ds_swizzle_b32 v3, v2 offset:swizzle(BROADCAST,32,15)
	ds_swizzle_b32 v4, v1 offset:swizzle(BROADCAST,32,15)
	v_cmp_eq_u32_e32 vcc_lo, 0, v1
	s_waitcnt lgkmcnt(1)
	v_add_f32_e32 v3, v2, v3
	s_waitcnt lgkmcnt(0)
	v_and_b32_e32 v7, v5, v4
	v_cndmask_b32_e32 v5, v2, v3, vcc_lo
	v_cmp_eq_u32_e32 vcc_lo, 0, v6
	v_lshlrev_b32_e32 v4, 3, v71
	v_add_nc_u32_e32 v1, v7, v1
	v_cndmask_b32_e32 v3, v5, v2, vcc_lo
	v_cmpx_eq_u32_e64 v0, v72
; %bb.91:
	v_cndmask_b32_e32 v2, v5, v2, vcc_lo
	ds_write_b64 v4, v[1:2] offset:2064
; %bb.92:
	s_or_b32 exec_lo, exec_lo, s15
	s_mov_b32 s15, exec_lo
	s_waitcnt lgkmcnt(0)
	s_barrier
	buffer_gl0_inv
	v_cmpx_gt_u32_e32 8, v0
	s_cbranch_execz .LBB104_94
; %bb.93:
	v_lshlrev_b32_e32 v2, 3, v0
	v_and_b32_e32 v8, 7, v70
	ds_read_b64 v[5:6], v2 offset:2064
	s_waitcnt lgkmcnt(0)
	v_mov_b32_dpp v7, v6 row_shr:1 row_mask:0xf bank_mask:0xf
	v_cmp_eq_u32_e32 vcc_lo, 0, v5
	v_mov_b32_dpp v37, v5 row_shr:1 row_mask:0xf bank_mask:0xf
	v_add_f32_e32 v7, v6, v7
	v_cndmask_b32_e32 v7, v6, v7, vcc_lo
	v_cmp_eq_u32_e32 vcc_lo, 0, v8
	v_cndmask_b32_e64 v37, v37, 0, vcc_lo
	v_cndmask_b32_e32 v6, v7, v6, vcc_lo
	v_add_nc_u32_e32 v5, v37, v5
	v_mov_b32_dpp v7, v6 row_shr:2 row_mask:0xf bank_mask:0xf
	v_cmp_eq_u32_e32 vcc_lo, 0, v5
	v_add_f32_e32 v7, v6, v7
	v_mov_b32_dpp v37, v5 row_shr:2 row_mask:0xf bank_mask:0xf
	v_cndmask_b32_e32 v7, v6, v7, vcc_lo
	v_cmp_lt_u32_e32 vcc_lo, 1, v8
	v_cndmask_b32_e32 v6, v6, v7, vcc_lo
	v_cndmask_b32_e32 v7, 0, v37, vcc_lo
	v_cmp_lt_u32_e32 vcc_lo, 3, v8
	v_mov_b32_dpp v37, v6 row_shr:4 row_mask:0xf bank_mask:0xf
	v_add_nc_u32_e32 v5, v7, v5
	v_add_f32_e32 v8, v6, v37
	v_mov_b32_dpp v7, v5 row_shr:4 row_mask:0xf bank_mask:0xf
	v_cmp_eq_u32_e64 s14, 0, v5
	v_cndmask_b32_e32 v7, 0, v7, vcc_lo
	s_and_b32 vcc_lo, vcc_lo, s14
	v_cndmask_b32_e32 v6, v6, v8, vcc_lo
	v_add_nc_u32_e32 v5, v7, v5
	ds_write_b64 v2, v[5:6] offset:2064
.LBB104_94:
	s_or_b32 exec_lo, exec_lo, s15
	v_mov_b32_e32 v38, 0
	v_mov_b32_e32 v37, 0
	s_mov_b32 s15, exec_lo
	v_cmp_gt_u32_e32 vcc_lo, 32, v0
	s_waitcnt lgkmcnt(0)
	s_barrier
	buffer_gl0_inv
	v_cmpx_lt_u32_e32 31, v0
	s_cbranch_execz .LBB104_96
; %bb.95:
	ds_read_b64 v[37:38], v4 offset:2056
	v_cmp_eq_u32_e64 s14, 0, v1
	s_waitcnt lgkmcnt(0)
	v_add_f32_e32 v2, v3, v38
	v_add_nc_u32_e32 v4, v37, v1
	v_cndmask_b32_e64 v3, v3, v2, s14
	v_mov_b32_e32 v1, v4
.LBB104_96:
	s_or_b32 exec_lo, exec_lo, s15
	v_sub_co_u32 v2, s14, v70, 1
	v_cmp_gt_i32_e64 s15, 0, v2
	v_cndmask_b32_e64 v2, v2, v70, s15
	v_lshlrev_b32_e32 v2, 2, v2
	ds_bpermute_b32 v45, v2, v1
	ds_bpermute_b32 v47, v2, v3
	s_and_saveexec_b32 s15, vcc_lo
	s_cbranch_execz .LBB104_116
; %bb.97:
	v_mov_b32_e32 v4, 0
	ds_read_b64 v[1:2], v4 offset:2120
	s_and_saveexec_b32 s22, s14
	s_cbranch_execz .LBB104_99
; %bb.98:
	s_add_i32 s24, s33, 32
	s_mov_b32 s25, 0
	v_mov_b32_e32 v3, 1
	s_lshl_b64 s[24:25], s[24:25], 4
	s_add_u32 s24, s20, s24
	s_addc_u32 s25, s21, s25
	v_mov_b32_e32 v5, s24
	v_mov_b32_e32 v6, s25
	s_waitcnt lgkmcnt(0)
	;;#ASMSTART
	global_store_dwordx4 v[5:6], v[1:4] off	
s_waitcnt vmcnt(0)
	;;#ASMEND
.LBB104_99:
	s_or_b32 exec_lo, exec_lo, s22
	v_xad_u32 v39, v70, -1, s33
	s_mov_b32 s23, 0
	v_add_nc_u32_e32 v3, 32, v39
	v_lshlrev_b64 v[5:6], 4, v[3:4]
	v_add_co_u32 v40, vcc_lo, s20, v5
	v_add_co_ci_u32_e64 v41, null, s21, v6, vcc_lo
	;;#ASMSTART
	global_load_dwordx4 v[5:8], v[40:41] off glc dlc	
s_waitcnt vmcnt(0)
	;;#ASMEND
	v_alignbit_b32 v8, v6, v5, 8
	v_alignbit_b32 v42, v6, v5, 16
	;; [unrolled: 1-line block ×3, first 2 shown]
	v_cmp_eq_u16_sdwa s24, v7, v4 src0_sel:BYTE_0 src1_sel:DWORD
	s_and_saveexec_b32 s22, s24
	s_cbranch_execz .LBB104_103
; %bb.100:
	v_mov_b32_e32 v3, 0
.LBB104_101:                            ; =>This Inner Loop Header: Depth=1
	;;#ASMSTART
	global_load_dwordx4 v[5:8], v[40:41] off glc dlc	
s_waitcnt vmcnt(0)
	;;#ASMEND
	v_cmp_ne_u16_sdwa s24, v7, v3 src0_sel:BYTE_0 src1_sel:DWORD
	s_or_b32 s23, s24, s23
	s_andn2_b32 exec_lo, exec_lo, s23
	s_cbranch_execnz .LBB104_101
; %bb.102:
	s_or_b32 exec_lo, exec_lo, s23
	v_alignbit_b32 v3, v6, v5, 24
	v_alignbit_b32 v42, v6, v5, 16
	;; [unrolled: 1-line block ×3, first 2 shown]
.LBB104_103:
	s_or_b32 exec_lo, exec_lo, s22
	v_cmp_ne_u32_e32 vcc_lo, 31, v70
	v_lshlrev_b32_e32 v40, 16, v42
	v_mov_b32_e32 v51, 2
	v_lshlrev_b32_e32 v8, 8, v8
	v_and_b32_e32 v5, 0xff, v5
	v_add_co_ci_u32_e64 v4, null, 0, v70, vcc_lo
	v_lshlrev_b32_e64 v53, v70, -1
	v_perm_b32 v3, v3, v40, 0x4020c0c
	v_cmp_eq_u16_sdwa s22, v7, v51 src0_sel:BYTE_0 src1_sel:DWORD
	v_lshlrev_b32_e32 v49, 2, v4
	v_and_b32_e32 v8, 0xff00, v8
	v_cmp_gt_u32_e32 vcc_lo, 30, v70
	v_add_nc_u32_e32 v66, 2, v70
	v_and_or_b32 v40, s22, v53, 0x80000000
	ds_bpermute_b32 v4, v49, v6
	v_or3_b32 v3, v3, v8, v5
	v_cndmask_b32_e64 v5, 0, 2, vcc_lo
	v_add_nc_u32_e32 v68, 4, v70
	v_ffbl_b32_e32 v8, v40
	v_add_nc_u32_e32 v75, 8, v70
	v_cmp_eq_u32_e32 vcc_lo, 0, v3
	v_add_lshl_u32 v55, v5, v70, 2
	ds_bpermute_b32 v5, v49, v3
	v_lshl_or_b32 v76, v70, 2, 64
	v_add_nc_u32_e32 v77, 16, v70
	s_waitcnt lgkmcnt(1)
	v_add_f32_e32 v4, v6, v4
	v_cndmask_b32_e32 v4, v6, v4, vcc_lo
	v_cmp_lt_u32_e32 vcc_lo, v70, v8
	v_cndmask_b32_e32 v4, v6, v4, vcc_lo
	s_waitcnt lgkmcnt(0)
	v_cndmask_b32_e32 v5, 0, v5, vcc_lo
	v_cmp_gt_u32_e32 vcc_lo, 28, v70
	ds_bpermute_b32 v6, v55, v4
	v_add_nc_u32_e32 v3, v5, v3
	ds_bpermute_b32 v40, v55, v3
	s_waitcnt lgkmcnt(1)
	v_add_f32_e32 v5, v4, v6
	v_cndmask_b32_e64 v6, 0, 4, vcc_lo
	v_cmp_eq_u32_e32 vcc_lo, 0, v3
	v_add_lshl_u32 v67, v6, v70, 2
	v_cndmask_b32_e32 v5, v4, v5, vcc_lo
	v_cmp_gt_u32_e32 vcc_lo, v66, v8
	v_cndmask_b32_e32 v4, v5, v4, vcc_lo
	s_waitcnt lgkmcnt(0)
	v_cndmask_b32_e64 v6, v40, 0, vcc_lo
	v_cmp_gt_u32_e32 vcc_lo, 24, v70
	ds_bpermute_b32 v5, v67, v4
	v_add_nc_u32_e32 v3, v3, v6
	v_cndmask_b32_e64 v40, 0, 8, vcc_lo
	ds_bpermute_b32 v6, v67, v3
	v_cmp_eq_u32_e32 vcc_lo, 0, v3
	v_add_lshl_u32 v69, v40, v70, 2
	s_waitcnt lgkmcnt(1)
	v_add_f32_e32 v5, v4, v5
	v_cndmask_b32_e32 v5, v4, v5, vcc_lo
	v_cmp_gt_u32_e32 vcc_lo, v68, v8
	v_cndmask_b32_e32 v4, v5, v4, vcc_lo
	s_waitcnt lgkmcnt(0)
	v_cndmask_b32_e64 v6, v6, 0, vcc_lo
	ds_bpermute_b32 v5, v69, v4
	v_add_nc_u32_e32 v3, v3, v6
	ds_bpermute_b32 v6, v69, v3
	v_cmp_eq_u32_e32 vcc_lo, 0, v3
	s_waitcnt lgkmcnt(1)
	v_add_f32_e32 v5, v4, v5
	v_cndmask_b32_e32 v5, v4, v5, vcc_lo
	v_cmp_gt_u32_e32 vcc_lo, v75, v8
	v_cndmask_b32_e32 v4, v5, v4, vcc_lo
	s_waitcnt lgkmcnt(0)
	v_cndmask_b32_e64 v6, v6, 0, vcc_lo
	ds_bpermute_b32 v5, v76, v4
	v_add_nc_u32_e32 v3, v3, v6
	ds_bpermute_b32 v40, v76, v3
	v_cmp_eq_u32_e32 vcc_lo, 0, v3
	s_waitcnt lgkmcnt(1)
	v_add_f32_e32 v5, v4, v5
	v_cndmask_b32_e32 v5, v4, v5, vcc_lo
	v_cmp_gt_u32_e32 vcc_lo, v77, v8
	v_cndmask_b32_e32 v6, v5, v4, vcc_lo
	s_waitcnt lgkmcnt(0)
	v_cndmask_b32_e64 v4, v40, 0, vcc_lo
	v_mov_b32_e32 v40, 0
	v_add_nc_u32_e32 v5, v4, v3
	s_branch .LBB104_107
.LBB104_104:                            ;   in Loop: Header=BB104_107 Depth=1
	s_or_b32 exec_lo, exec_lo, s23
	v_alignbit_b32 v8, v6, v5, 24
	v_alignbit_b32 v79, v6, v5, 16
	;; [unrolled: 1-line block ×3, first 2 shown]
.LBB104_105:                            ;   in Loop: Header=BB104_107 Depth=1
	s_or_b32 exec_lo, exec_lo, s22
	ds_bpermute_b32 v41, v49, v6
	v_lshlrev_b32_e32 v42, 16, v79
	v_lshlrev_b32_e32 v78, 8, v78
	v_cmp_eq_u16_sdwa s22, v7, v51 src0_sel:BYTE_0 src1_sel:DWORD
	v_and_b32_e32 v5, 0xff, v5
	v_subrev_nc_u32_e32 v39, 32, v39
	v_perm_b32 v8, v8, v42, 0x4020c0c
	v_and_b32_e32 v42, 0xff00, v78
	v_and_or_b32 v78, s22, v53, 0x80000000
	s_mov_b32 s22, 0
	v_or3_b32 v5, v8, v42, v5
	v_cmp_eq_u32_e32 vcc_lo, 0, v5
	ds_bpermute_b32 v42, v49, v5
	s_waitcnt lgkmcnt(1)
	v_add_f32_e32 v8, v6, v41
	v_ffbl_b32_e32 v41, v78
	v_cndmask_b32_e32 v8, v6, v8, vcc_lo
	v_cmp_lt_u32_e32 vcc_lo, v70, v41
	v_cndmask_b32_e32 v6, v6, v8, vcc_lo
	ds_bpermute_b32 v8, v55, v6
	s_waitcnt lgkmcnt(1)
	v_cndmask_b32_e32 v42, 0, v42, vcc_lo
	v_add_nc_u32_e32 v5, v42, v5
	v_cmp_eq_u32_e32 vcc_lo, 0, v5
	ds_bpermute_b32 v42, v55, v5
	s_waitcnt lgkmcnt(1)
	v_add_f32_e32 v8, v6, v8
	v_cndmask_b32_e32 v8, v6, v8, vcc_lo
	v_cmp_gt_u32_e32 vcc_lo, v66, v41
	v_cndmask_b32_e32 v6, v8, v6, vcc_lo
	s_waitcnt lgkmcnt(0)
	v_cndmask_b32_e64 v42, v42, 0, vcc_lo
	ds_bpermute_b32 v8, v67, v6
	v_add_nc_u32_e32 v5, v5, v42
	v_cmp_eq_u32_e32 vcc_lo, 0, v5
	ds_bpermute_b32 v42, v67, v5
	s_waitcnt lgkmcnt(1)
	v_add_f32_e32 v8, v6, v8
	v_cndmask_b32_e32 v8, v6, v8, vcc_lo
	v_cmp_gt_u32_e32 vcc_lo, v68, v41
	v_cndmask_b32_e32 v6, v8, v6, vcc_lo
	s_waitcnt lgkmcnt(0)
	v_cndmask_b32_e64 v42, v42, 0, vcc_lo
	ds_bpermute_b32 v8, v69, v6
	v_add_nc_u32_e32 v5, v5, v42
	ds_bpermute_b32 v42, v69, v5
	v_cmp_eq_u32_e32 vcc_lo, 0, v5
	s_waitcnt lgkmcnt(1)
	v_add_f32_e32 v8, v6, v8
	v_cndmask_b32_e32 v8, v6, v8, vcc_lo
	v_cmp_gt_u32_e32 vcc_lo, v75, v41
	v_cndmask_b32_e32 v6, v8, v6, vcc_lo
	s_waitcnt lgkmcnt(0)
	v_cndmask_b32_e64 v42, v42, 0, vcc_lo
	ds_bpermute_b32 v8, v76, v6
	v_add_nc_u32_e32 v5, v5, v42
	ds_bpermute_b32 v42, v76, v5
	v_cmp_eq_u32_e32 vcc_lo, 0, v5
	s_waitcnt lgkmcnt(1)
	v_add_f32_e32 v8, v6, v8
	v_cndmask_b32_e32 v8, v6, v8, vcc_lo
	v_cmp_gt_u32_e32 vcc_lo, v77, v41
	v_cndmask_b32_e32 v6, v8, v6, vcc_lo
	s_waitcnt lgkmcnt(0)
	v_cndmask_b32_e64 v8, v42, 0, vcc_lo
	v_cmp_eq_u32_e32 vcc_lo, 0, v3
	v_add_f32_e32 v6, v4, v6
	v_add3_u32 v5, v5, v3, v8
	v_cndmask_b32_e32 v6, v4, v6, vcc_lo
.LBB104_106:                            ;   in Loop: Header=BB104_107 Depth=1
	s_and_b32 vcc_lo, exec_lo, s22
	s_cbranch_vccnz .LBB104_112
.LBB104_107:                            ; =>This Loop Header: Depth=1
                                        ;     Child Loop BB104_110 Depth 2
	v_cmp_ne_u16_sdwa s22, v7, v51 src0_sel:BYTE_0 src1_sel:DWORD
	v_mov_b32_e32 v4, v6
	v_mov_b32_e32 v3, v5
                                        ; implicit-def: $vgpr6
                                        ; implicit-def: $vgpr5
                                        ; implicit-def: $vgpr7
	s_cmp_lg_u32 s22, exec_lo
	s_mov_b32 s22, -1
	s_cbranch_scc1 .LBB104_106
; %bb.108:                              ;   in Loop: Header=BB104_107 Depth=1
	v_lshlrev_b64 v[5:6], 4, v[39:40]
	v_add_co_u32 v41, vcc_lo, s20, v5
	v_add_co_ci_u32_e64 v42, null, s21, v6, vcc_lo
	;;#ASMSTART
	global_load_dwordx4 v[5:8], v[41:42] off glc dlc	
s_waitcnt vmcnt(0)
	;;#ASMEND
	v_alignbit_b32 v78, v6, v5, 8
	v_alignbit_b32 v79, v6, v5, 16
	v_alignbit_b32 v8, v6, v5, 24
	v_cmp_eq_u16_sdwa s23, v7, v40 src0_sel:BYTE_0 src1_sel:DWORD
	s_and_saveexec_b32 s22, s23
	s_cbranch_execz .LBB104_105
; %bb.109:                              ;   in Loop: Header=BB104_107 Depth=1
	s_mov_b32 s23, 0
.LBB104_110:                            ;   Parent Loop BB104_107 Depth=1
                                        ; =>  This Inner Loop Header: Depth=2
	;;#ASMSTART
	global_load_dwordx4 v[5:8], v[41:42] off glc dlc	
s_waitcnt vmcnt(0)
	;;#ASMEND
	v_cmp_ne_u16_sdwa s24, v7, v40 src0_sel:BYTE_0 src1_sel:DWORD
	s_or_b32 s23, s24, s23
	s_andn2_b32 exec_lo, exec_lo, s23
	s_cbranch_execnz .LBB104_110
	s_branch .LBB104_104
.LBB104_111:
                                        ; implicit-def: $vgpr1
                                        ; implicit-def: $vgpr37
                                        ; implicit-def: $vgpr5
                                        ; implicit-def: $vgpr68
                                        ; implicit-def: $vgpr66
                                        ; implicit-def: $vgpr42
                                        ; implicit-def: $vgpr38
                                        ; implicit-def: $vgpr40
                                        ; implicit-def: $vgpr39
                                        ; implicit-def: $vgpr41
                                        ; implicit-def: $vgpr45
                                        ; implicit-def: $vgpr47
                                        ; implicit-def: $vgpr49
                                        ; implicit-def: $vgpr51
                                        ; implicit-def: $vgpr53
                                        ; implicit-def: $vgpr55
                                        ; implicit-def: $vgpr67
                                        ; implicit-def: $vgpr69
	s_cbranch_execnz .LBB104_117
	s_branch .LBB104_128
.LBB104_112:
	s_and_saveexec_b32 s22, s14
	s_cbranch_execz .LBB104_114
; %bb.113:
	s_mov_b32 s25, 0
	s_add_i32 s24, s33, 32
	v_add_f32_e32 v6, v4, v2
	s_lshl_b64 s[24:25], s[24:25], 4
	v_cmp_eq_u32_e32 vcc_lo, 0, v1
	s_add_u32 s24, s20, s24
	s_addc_u32 s25, s21, s25
	v_mov_b32_e32 v8, 0
	v_mov_b32_e32 v40, s25
	v_add_nc_u32_e32 v5, v3, v1
	v_cndmask_b32_e32 v6, v2, v6, vcc_lo
	v_mov_b32_e32 v7, 2
	v_mov_b32_e32 v39, s24
	;;#ASMSTART
	global_store_dwordx4 v[39:40], v[5:8] off	
s_waitcnt vmcnt(0)
	;;#ASMEND
	ds_write_b128 v8, v[1:4] offset:2048
.LBB104_114:
	s_or_b32 exec_lo, exec_lo, s22
	s_and_b32 exec_lo, exec_lo, s0
; %bb.115:
	v_mov_b32_e32 v1, 0
	ds_write_b64 v1, v[3:4] offset:2120
.LBB104_116:
	s_or_b32 exec_lo, exec_lo, s15
	v_mov_b32_e32 v1, 0
	s_waitcnt lgkmcnt(0)
	s_barrier
	buffer_gl0_inv
	v_cndmask_b32_e64 v2, v47, v38, s14
	ds_read_b64 v[5:6], v1 offset:2120
	v_cndmask_b32_e64 v7, v45, v37, s14
	s_waitcnt lgkmcnt(0)
	s_barrier
	buffer_gl0_inv
	v_cmp_eq_u32_e32 vcc_lo, 0, v7
	v_add_f32_e32 v3, v2, v6
	v_cndmask_b32_e32 v2, v2, v3, vcc_lo
	v_cmp_eq_u32_e32 vcc_lo, 0, v43
	v_cndmask_b32_e64 v68, v2, v6, s0
	v_add_f32_e32 v2, v13, v68
	v_cndmask_b32_e32 v66, v13, v2, vcc_lo
	v_add_f32_e32 v2, v14, v66
	v_cndmask_b32_e64 v69, v14, v2, s13
	v_add_f32_e32 v2, v15, v69
	v_cndmask_b32_e64 v67, v15, v2, s12
	;; [unrolled: 2-line block ×10, first 2 shown]
	ds_read_b128 v[1:4], v1 offset:2048
	v_add_f32_e32 v6, v12, v39
	v_cndmask_b32_e64 v40, v12, v6, s3
	v_add_f32_e32 v6, v9, v40
	v_cndmask_b32_e64 v38, v9, v6, s2
	v_cndmask_b32_e64 v6, v7, 0, s0
	s_waitcnt lgkmcnt(0)
	v_add_f32_e32 v4, v4, v2
	v_cmp_eq_u32_e32 vcc_lo, 0, v1
	v_add_f32_e32 v7, v10, v38
	v_add_nc_u32_e32 v6, v5, v6
	v_mov_b32_e32 v5, v3
	v_cndmask_b32_e32 v37, v2, v4, vcc_lo
	v_cndmask_b32_e64 v42, v10, v7, s1
	v_mov_b32_e32 v4, v6
	s_branch .LBB104_128
.LBB104_117:
	s_cmp_eq_u64 s[34:35], 0
	v_mov_b32_e32 v5, v13
	s_cselect_b32 s1, -1, 0
	s_or_b32 s1, s16, s1
	s_and_b32 vcc_lo, exec_lo, s1
	s_cbranch_vccnz .LBB104_119
; %bb.118:
	v_mov_b32_e32 v1, 0
	global_load_dword v5, v1, s[34:35]
.LBB104_119:
	v_cmp_eq_u32_e64 s1, 0, v64
	v_cmp_eq_u32_e64 s2, 0, v57
	v_cmp_eq_u32_e64 s3, 0, v56
	v_cmp_eq_u32_e64 s4, 0, v63
	v_cmp_eq_u32_e64 s5, 0, v62
	v_cndmask_b32_e64 v1, v14, v74, s1
	v_cmp_eq_u32_e64 s6, 0, v60
	v_cmp_eq_u32_e64 s7, 0, v59
	;; [unrolled: 1-line block ×4, first 2 shown]
	v_add_f32_e32 v1, v15, v1
	v_cmp_eq_u32_e64 s12, 0, v50
	v_cmp_eq_u32_e64 s9, 0, v48
	;; [unrolled: 1-line block ×3, first 2 shown]
	v_add3_u32 v2, v73, v62, v60
	v_cndmask_b32_e64 v1, v15, v1, s2
	v_cmp_eq_u32_e32 vcc_lo, 0, v44
	v_cmp_eq_u32_e64 s13, 0, v61
	v_and_b32_e32 v4, 15, v70
	v_add3_u32 v2, v2, v59, v54
	v_add_f32_e32 v1, v16, v1
	v_and_b32_e32 v7, 16, v70
	v_add3_u32 v2, v2, v52, v50
	v_cndmask_b32_e64 v1, v16, v1, s3
	v_cmp_eq_u32_e64 s14, 0, v7
	v_add3_u32 v2, v2, v48, v46
	v_add_f32_e32 v1, v31, v1
	v_add3_u32 v2, v2, v44, v61
	v_cndmask_b32_e64 v1, v31, v1, s4
	v_mov_b32_dpp v6, v2 row_shr:1 row_mask:0xf bank_mask:0xf
	v_add_f32_e32 v1, v32, v1
	v_cndmask_b32_e64 v1, v32, v1, s5
	v_add_f32_e32 v1, v33, v1
	v_cndmask_b32_e64 v1, v33, v1, s6
	v_add_f32_e32 v1, v34, v1
	v_cndmask_b32_e64 v1, v34, v1, s7
	v_add_f32_e32 v1, v35, v1
	v_cndmask_b32_e64 v1, v35, v1, s8
	v_add_f32_e32 v1, v36, v1
	v_cndmask_b32_e64 v1, v36, v1, s10
	v_add_f32_e32 v1, v11, v1
	v_cndmask_b32_e64 v1, v11, v1, s12
	v_add_f32_e32 v1, v12, v1
	v_cndmask_b32_e64 v1, v12, v1, s9
	v_add_f32_e32 v1, v9, v1
	v_cndmask_b32_e64 v1, v9, v1, s11
	v_add_f32_e32 v1, v10, v1
	v_cndmask_b32_e32 v1, v10, v1, vcc_lo
	v_add_f32_e32 v1, v65, v1
	v_cndmask_b32_e64 v1, v65, v1, s13
	v_cmp_eq_u32_e64 s13, 0, v2
	v_mov_b32_dpp v3, v1 row_shr:1 row_mask:0xf bank_mask:0xf
	v_add_f32_e32 v3, v1, v3
	v_cndmask_b32_e64 v3, v1, v3, s13
	v_cmp_eq_u32_e64 s13, 0, v4
	v_cndmask_b32_e64 v6, v6, 0, s13
	v_cndmask_b32_e64 v1, v3, v1, s13
	v_add_nc_u32_e32 v2, v6, v2
	v_mov_b32_dpp v3, v1 row_shr:2 row_mask:0xf bank_mask:0xf
	v_cmp_eq_u32_e64 s13, 0, v2
	v_add_f32_e32 v3, v1, v3
	v_mov_b32_dpp v6, v2 row_shr:2 row_mask:0xf bank_mask:0xf
	v_cndmask_b32_e64 v3, v1, v3, s13
	v_cmp_lt_u32_e64 s13, 1, v4
	v_cndmask_b32_e64 v1, v1, v3, s13
	v_cndmask_b32_e64 v3, 0, v6, s13
	v_mov_b32_dpp v6, v1 row_shr:4 row_mask:0xf bank_mask:0xf
	v_add_nc_u32_e32 v2, v2, v3
	v_add_f32_e32 v3, v1, v6
	v_cmp_eq_u32_e64 s13, 0, v2
	v_mov_b32_dpp v6, v2 row_shr:4 row_mask:0xf bank_mask:0xf
	v_cndmask_b32_e64 v3, v1, v3, s13
	v_cmp_lt_u32_e64 s13, 3, v4
	v_cndmask_b32_e64 v1, v1, v3, s13
	v_cndmask_b32_e64 v3, 0, v6, s13
	v_mov_b32_dpp v6, v1 row_shr:8 row_mask:0xf bank_mask:0xf
	v_add_nc_u32_e32 v2, v3, v2
	v_add_f32_e32 v3, v1, v6
	v_cmp_eq_u32_e64 s13, 0, v2
	v_mov_b32_dpp v6, v2 row_shr:8 row_mask:0xf bank_mask:0xf
	v_cndmask_b32_e64 v3, v1, v3, s13
	v_cmp_lt_u32_e64 s13, 7, v4
	v_cndmask_b32_e64 v3, v1, v3, s13
	v_cndmask_b32_e64 v1, 0, v6, s13
	v_bfe_i32 v6, v70, 4, 1
	v_add_nc_u32_e32 v1, v1, v2
	ds_swizzle_b32 v2, v3 offset:swizzle(BROADCAST,32,15)
	ds_swizzle_b32 v4, v1 offset:swizzle(BROADCAST,32,15)
	v_cmp_eq_u32_e64 s13, 0, v1
	s_waitcnt lgkmcnt(1)
	v_add_f32_e32 v2, v3, v2
	s_waitcnt lgkmcnt(0)
	v_and_b32_e32 v4, v6, v4
	v_cndmask_b32_e64 v2, v3, v2, s13
	v_add_nc_u32_e32 v1, v4, v1
	v_cndmask_b32_e64 v2, v2, v3, s14
	v_lshlrev_b32_e32 v4, 3, v71
	s_mov_b32 s14, exec_lo
	v_cmpx_eq_u32_e64 v0, v72
; %bb.120:
	ds_write_b64 v4, v[1:2] offset:2064
; %bb.121:
	s_or_b32 exec_lo, exec_lo, s14
	s_mov_b32 s15, exec_lo
	s_waitcnt vmcnt(0) lgkmcnt(0)
	s_barrier
	buffer_gl0_inv
	v_cmpx_gt_u32_e32 8, v0
	s_cbranch_execz .LBB104_123
; %bb.122:
	v_lshlrev_b32_e32 v3, 3, v0
	v_and_b32_e32 v37, 7, v70
	ds_read_b64 v[6:7], v3 offset:2064
	s_waitcnt lgkmcnt(0)
	v_mov_b32_dpp v8, v7 row_shr:1 row_mask:0xf bank_mask:0xf
	v_cmp_eq_u32_e64 s13, 0, v6
	v_mov_b32_dpp v38, v6 row_shr:1 row_mask:0xf bank_mask:0xf
	v_add_f32_e32 v8, v7, v8
	v_cndmask_b32_e64 v8, v7, v8, s13
	v_cmp_eq_u32_e64 s13, 0, v37
	v_cndmask_b32_e64 v38, v38, 0, s13
	v_cndmask_b32_e64 v7, v8, v7, s13
	v_add_nc_u32_e32 v6, v38, v6
	v_mov_b32_dpp v8, v7 row_shr:2 row_mask:0xf bank_mask:0xf
	v_cmp_eq_u32_e64 s13, 0, v6
	v_add_f32_e32 v8, v7, v8
	v_mov_b32_dpp v38, v6 row_shr:2 row_mask:0xf bank_mask:0xf
	v_cndmask_b32_e64 v8, v7, v8, s13
	v_cmp_lt_u32_e64 s13, 1, v37
	v_cndmask_b32_e64 v7, v7, v8, s13
	v_cndmask_b32_e64 v8, 0, v38, s13
	v_cmp_lt_u32_e64 s13, 3, v37
	v_mov_b32_dpp v38, v7 row_shr:4 row_mask:0xf bank_mask:0xf
	v_add_nc_u32_e32 v6, v8, v6
	v_add_f32_e32 v37, v7, v38
	v_mov_b32_dpp v8, v6 row_shr:4 row_mask:0xf bank_mask:0xf
	v_cmp_eq_u32_e64 s14, 0, v6
	v_cndmask_b32_e64 v8, 0, v8, s13
	s_and_b32 s13, s13, s14
	v_cndmask_b32_e64 v7, v7, v37, s13
	v_add_nc_u32_e32 v6, v8, v6
	ds_write_b64 v3, v[6:7] offset:2064
.LBB104_123:
	s_or_b32 exec_lo, exec_lo, s15
	v_mov_b32_e32 v6, 0
	v_mov_b32_e32 v3, 0
	;; [unrolled: 1-line block ×3, first 2 shown]
	s_mov_b32 s14, exec_lo
	s_waitcnt lgkmcnt(0)
	s_barrier
	buffer_gl0_inv
	v_cmpx_lt_u32_e32 31, v0
	s_cbranch_execz .LBB104_125
; %bb.124:
	ds_read_b64 v[3:4], v4 offset:2056
	s_waitcnt lgkmcnt(0)
	v_add_f32_e32 v7, v5, v4
	v_cmp_eq_u32_e64 s13, 0, v3
	v_cndmask_b32_e64 v7, v4, v7, s13
.LBB104_125:
	s_or_b32 exec_lo, exec_lo, s14
	v_sub_co_u32 v4, s13, v70, 1
	v_add_f32_e32 v8, v2, v7
	v_add_nc_u32_e32 v37, v3, v1
	v_cmp_gt_i32_e64 s14, 0, v4
	v_cndmask_b32_e64 v4, v4, v70, s14
	v_cmp_eq_u32_e64 s14, 0, v1
	v_lshlrev_b32_e32 v4, 2, v4
	v_cndmask_b32_e64 v1, v2, v8, s14
	ds_bpermute_b32 v2, v4, v37
	ds_bpermute_b32 v1, v4, v1
	s_waitcnt lgkmcnt(1)
	v_cndmask_b32_e64 v4, v2, v3, s13
	s_waitcnt lgkmcnt(0)
	v_cndmask_b32_e64 v68, v1, v7, s13
	v_cmp_eq_u32_e64 s13, 0, v43
	v_cndmask_b32_e64 v1, v68, v5, s0
	v_add_f32_e32 v1, v13, v1
	v_cndmask_b32_e64 v66, v13, v1, s13
	v_add_f32_e32 v1, v14, v66
	;; [unrolled: 2-line block ×11, first 2 shown]
	v_cndmask_b32_e64 v39, v11, v1, s12
	ds_read_b64 v[1:2], v6 offset:2120
	v_add_f32_e32 v3, v12, v39
	v_cndmask_b32_e64 v40, v12, v3, s9
	v_add_f32_e32 v3, v9, v40
	v_cndmask_b32_e64 v38, v9, v3, s11
	s_waitcnt lgkmcnt(0)
	v_add_f32_e32 v3, v5, v2
	v_cmp_eq_u32_e64 s1, 0, v1
	v_add_f32_e32 v6, v10, v38
	v_cndmask_b32_e64 v37, v2, v3, s1
	s_and_saveexec_b32 s1, s0
	s_cbranch_execz .LBB104_127
; %bb.126:
	s_add_u32 s2, s20, 0x200
	s_addc_u32 s3, s21, 0
	v_mov_b32_e32 v4, 0
	v_mov_b32_e32 v68, v5
	;; [unrolled: 1-line block ×6, first 2 shown]
	;;#ASMSTART
	global_store_dwordx4 v[7:8], v[1:4] off	
s_waitcnt vmcnt(0)
	;;#ASMEND
.LBB104_127:
	s_or_b32 exec_lo, exec_lo, s1
	v_cndmask_b32_e32 v42, v10, v6, vcc_lo
	v_mov_b32_e32 v5, 0
.LBB104_128:
	s_cmp_eq_u64 s[38:39], 0
	v_mov_b32_e32 v7, 0
	s_cselect_b32 s1, -1, 0
	v_mov_b32_e32 v8, 0
	s_or_b32 s1, s16, s1
	s_and_b32 vcc_lo, exec_lo, s1
	s_barrier
	buffer_gl0_inv
	s_cbranch_vccnz .LBB104_130
; %bb.129:
	v_mov_b32_e32 v2, 0
	global_load_dwordx2 v[7:8], v2, s[38:39]
.LBB104_130:
	v_cmp_eq_u32_e32 vcc_lo, 0, v43
	v_add_nc_u32_e32 v65, v4, v43
	v_cmp_ne_u32_e64 s13, 0, v43
	v_cmp_ne_u32_e64 s12, 0, v64
	;; [unrolled: 1-line block ×3, first 2 shown]
	v_cndmask_b32_e64 v2, 1, 2, vcc_lo
	v_cmp_eq_u32_e32 vcc_lo, 0, v64
	v_add_nc_u32_e32 v71, v65, v64
	v_cmp_ne_u32_e64 s9, 0, v56
	v_cmp_ne_u32_e64 s15, 0, v63
	;; [unrolled: 1-line block ×3, first 2 shown]
	v_cndmask_b32_e64 v3, 1, 2, vcc_lo
	v_cmp_eq_u32_e32 vcc_lo, 0, v57
	v_add_nc_u32_e32 v70, v71, v57
	v_cmp_ne_u32_e64 s11, 0, v60
	v_cmp_ne_u32_e64 s8, 0, v59
	v_and_b32_e32 v2, v3, v2
	v_cndmask_b32_e64 v6, 1, 2, vcc_lo
	v_cmp_eq_u32_e32 vcc_lo, 0, v56
	v_add_nc_u32_e32 v36, v70, v56
	v_cmp_ne_u32_e64 s7, 0, v54
	v_cmp_ne_u32_e64 s6, 0, v52
	v_and_b32_e32 v6, v2, v6
	v_cndmask_b32_e64 v9, 1, 2, vcc_lo
	v_cmp_eq_u32_e32 vcc_lo, 0, v63
	v_add_nc_u32_e32 v35, v36, v63
	s_waitcnt vmcnt(0)
	v_lshlrev_b64 v[2:3], 2, v[7:8]
	v_cmp_ne_u32_e64 s5, 0, v50
	v_and_b32_e32 v9, v6, v9
	v_cndmask_b32_e64 v10, 1, 2, vcc_lo
	v_cmp_eq_u32_e32 vcc_lo, 0, v62
	v_add_nc_u32_e32 v34, v35, v62
	v_mov_b32_e32 v6, 0
	v_cmp_ne_u32_e64 s4, 0, v48
	v_and_b32_e32 v9, v9, v10
	v_cndmask_b32_e64 v11, 1, 2, vcc_lo
	v_cmp_eq_u32_e32 vcc_lo, 0, v60
	v_add_nc_u32_e32 v33, v34, v60
	v_cmp_ne_u32_e64 s3, 0, v46
	v_cmp_ne_u32_e64 s2, 0, v44
	v_and_b32_e32 v9, v9, v11
	v_cndmask_b32_e64 v10, 1, 2, vcc_lo
	v_cmp_eq_u32_e32 vcc_lo, 0, v59
	v_add_nc_u32_e32 v32, v33, v59
	v_cmp_ne_u32_e64 s1, 0, v61
	v_and_b32_e32 v9, v9, v10
	v_cndmask_b32_e64 v11, 1, 2, vcc_lo
	v_cmp_eq_u32_e32 vcc_lo, 0, v54
	v_add_nc_u32_e32 v31, v32, v54
	v_and_b32_e32 v9, v9, v11
	v_cndmask_b32_e64 v10, 1, 2, vcc_lo
	v_cmp_eq_u32_e32 vcc_lo, 0, v52
	v_add_nc_u32_e32 v16, v31, v52
	;; [unrolled: 4-line block ×3, first 2 shown]
	v_and_b32_e32 v11, v9, v11
	v_cndmask_b32_e64 v12, 1, 2, vcc_lo
	v_cmp_eq_u32_e32 vcc_lo, 0, v48
	v_lshlrev_b64 v[9:10], 2, v[5:6]
	v_add_nc_u32_e32 v14, v15, v48
	v_and_b32_e32 v6, v11, v12
	v_cndmask_b32_e64 v13, 1, 2, vcc_lo
	v_cmp_eq_u32_e32 vcc_lo, 0, v46
	v_and_b32_e32 v75, v6, v13
	v_cndmask_b32_e64 v74, 1, 2, vcc_lo
	v_add_co_u32 v11, vcc_lo, s18, v2
	v_add_co_ci_u32_e64 v12, null, s19, v3, vcc_lo
	v_add_nc_u32_e32 v13, v14, v46
	v_add_co_u32 v72, vcc_lo, v11, v9
	v_add_co_ci_u32_e64 v73, null, v12, v10, vcc_lo
	v_cmp_eq_u32_e32 vcc_lo, 0, v44
	v_and_b32_e32 v11, v75, v74
	v_add_nc_u32_e32 v6, v13, v44
	s_mov_b32 s18, -1
	v_cndmask_b32_e64 v12, 1, 2, vcc_lo
	v_cmp_eq_u32_e32 vcc_lo, 0, v61
	v_and_b32_e32 v11, v11, v12
	v_cndmask_b32_e64 v12, 1, 2, vcc_lo
	v_cmp_gt_u32_e32 vcc_lo, 0x100, v1
	v_and_b32_e32 v11, v11, v12
	v_cmp_gt_i16_e64 s16, 2, v11
	s_cbranch_vccz .LBB104_137
; %bb.131:
	s_and_saveexec_b32 s18, s16
	s_cbranch_execz .LBB104_136
; %bb.132:
	s_mov_b32 s19, 0
	s_mov_b32 s16, exec_lo
	v_cmpx_ne_u16_e32 1, v11
	s_xor_b32 s16, exec_lo, s16
	s_cbranch_execnz .LBB104_168
; %bb.133:
	s_andn2_saveexec_b32 s16, s16
	s_cbranch_execnz .LBB104_184
.LBB104_134:
	s_or_b32 exec_lo, exec_lo, s16
	s_and_b32 exec_lo, exec_lo, s19
	s_cbranch_execz .LBB104_136
.LBB104_135:
	v_sub_nc_u32_e32 v74, v6, v5
	v_mov_b32_e32 v75, 0
	v_lshlrev_b64 v[74:75], 2, v[74:75]
	v_add_co_u32 v74, vcc_lo, v72, v74
	v_add_co_ci_u32_e64 v75, null, v73, v75, vcc_lo
	global_store_dword v[74:75], v58, off
.LBB104_136:
	s_or_b32 exec_lo, exec_lo, s18
	s_mov_b32 s18, 0
.LBB104_137:
	s_and_b32 vcc_lo, exec_lo, s18
	s_cbranch_vccz .LBB104_147
; %bb.138:
	s_mov_b32 s16, exec_lo
	v_cmpx_gt_i16_e32 2, v11
	s_cbranch_execz .LBB104_143
; %bb.139:
	s_mov_b32 s19, 0
	s_mov_b32 s18, exec_lo
	v_cmpx_ne_u16_e32 1, v11
	s_xor_b32 s18, exec_lo, s18
	s_cbranch_execnz .LBB104_185
; %bb.140:
	s_andn2_saveexec_b32 s1, s18
	s_cbranch_execnz .LBB104_201
.LBB104_141:
	s_or_b32 exec_lo, exec_lo, s1
	s_and_b32 exec_lo, exec_lo, s19
.LBB104_142:
	v_sub_nc_u32_e32 v11, v6, v5
	v_lshlrev_b32_e32 v11, 2, v11
	ds_write_b32 v11, v58
.LBB104_143:
	s_or_b32 exec_lo, exec_lo, s16
	s_mov_b32 s2, exec_lo
	s_waitcnt lgkmcnt(0)
	s_waitcnt_vscnt null, 0x0
	s_barrier
	buffer_gl0_inv
	v_cmpx_lt_u32_e64 v0, v1
	s_cbranch_execz .LBB104_146
; %bb.144:
	v_lshlrev_b32_e32 v17, 2, v0
	v_mov_b32_e32 v12, 0
	v_mov_b32_e32 v11, v0
	s_mov_b32 s3, 0
	.p2align	6
.LBB104_145:                            ; =>This Inner Loop Header: Depth=1
	ds_read_b32 v20, v17
	v_lshlrev_b64 v[18:19], 2, v[11:12]
	v_add_nc_u32_e32 v11, 0x100, v11
	v_add_nc_u32_e32 v17, 0x400, v17
	v_cmp_ge_u32_e32 vcc_lo, v11, v1
	v_add_co_u32 v18, s1, v72, v18
	v_add_co_ci_u32_e64 v19, null, v73, v19, s1
	s_or_b32 s3, vcc_lo, s3
	s_waitcnt lgkmcnt(0)
	global_store_dword v[18:19], v20, off
	s_andn2_b32 exec_lo, exec_lo, s3
	s_cbranch_execnz .LBB104_145
.LBB104_146:
	s_or_b32 exec_lo, exec_lo, s2
.LBB104_147:
	s_cmpk_lg_i32 s26, 0xf00
	v_cndmask_b32_e64 v18, 0, 1, s27
	s_cselect_b32 s1, -1, 0
	v_mad_i32_i24 v17, v0, -15, s26
	s_and_b32 s1, s1, s17
	s_and_b32 s0, s0, s27
	v_cndmask_b32_e64 v12, 0, 1, s1
	s_mul_hi_u32 s1, s26, 0x88888889
	v_cndmask_b32_e64 v19, v43, 0, s0
	s_lshr_b32 s0, s1, 3
	v_sub_nc_u32_e32 v11, v1, v18
	v_cmp_eq_u32_e32 vcc_lo, s0, v0
	v_cmp_ne_u32_e64 s0, 0, v17
	s_mov_b32 s16, -1
	s_waitcnt_vscnt null, 0x0
	v_add_nc_u32_e32 v11, v11, v12
	s_and_b32 vcc_lo, vcc_lo, s17
	v_cndmask_b32_e64 v12, 1, v19, s0
	v_cmp_ne_u32_e64 s0, 1, v17
	s_barrier
	buffer_gl0_inv
	v_cndmask_b32_e32 v19, v19, v12, vcc_lo
	v_cndmask_b32_e64 v20, 1, v64, s0
	v_cmp_ne_u32_e64 s0, 14, v17
	v_cmp_ne_u32_e64 s14, 0, v19
	v_cndmask_b32_e32 v20, v64, v20, vcc_lo
	v_cndmask_b32_e64 v21, 1, v61, s0
	v_cmp_ne_u32_e64 s0, 2, v17
	v_cmp_ne_u32_e64 s13, 0, v20
	v_cndmask_b32_e32 v21, v61, v21, vcc_lo
	v_cndmask_b32_e64 v22, 1, v57, s0
	v_cmp_ne_u32_e64 s0, 3, v17
	v_cndmask_b32_e32 v22, v57, v22, vcc_lo
	v_cndmask_b32_e64 v23, 1, v56, s0
	v_cmp_ne_u32_e64 s0, 4, v17
	v_cmp_ne_u32_e64 s12, 0, v22
	v_cndmask_b32_e32 v23, v56, v23, vcc_lo
	v_cndmask_b32_e64 v12, 1, v63, s0
	v_cmp_ne_u32_e64 s0, 5, v17
	v_cmp_ne_u32_e64 s11, 0, v23
	v_cndmask_b32_e32 v30, v63, v12, vcc_lo
	v_cndmask_b32_e64 v24, 1, v62, s0
	v_cmp_eq_u32_e64 s0, 0, v19
	v_cmp_ne_u32_e64 s10, 0, v30
	v_cndmask_b32_e32 v24, v62, v24, vcc_lo
	v_cndmask_b32_e64 v25, 1, 2, s0
	v_cmp_eq_u32_e64 s0, 0, v20
	v_cmp_ne_u32_e64 s9, 0, v24
	v_cndmask_b32_e64 v26, 1, 2, s0
	v_cmp_ne_u32_e64 s0, 6, v17
	v_and_b32_e32 v25, v26, v25
	v_cndmask_b32_e64 v27, 1, v60, s0
	v_cmp_eq_u32_e64 s0, 0, v22
	v_cndmask_b32_e32 v27, v60, v27, vcc_lo
	v_cndmask_b32_e64 v26, 1, 2, s0
	v_cmp_ne_u32_e64 s0, 7, v17
	v_cmp_ne_u32_e64 s8, 0, v27
	v_and_b32_e32 v25, v25, v26
	v_cndmask_b32_e64 v28, 1, v59, s0
	v_cmp_ne_u32_e64 s0, 8, v17
	v_cndmask_b32_e32 v28, v59, v28, vcc_lo
	v_cndmask_b32_e64 v29, 1, v54, s0
	v_cmp_eq_u32_e64 s0, 0, v23
	v_cmp_ne_u32_e64 s7, 0, v28
	v_cndmask_b32_e32 v29, v54, v29, vcc_lo
	v_cndmask_b32_e64 v26, 1, 2, s0
	v_cmp_ne_u32_e64 s0, 9, v17
	v_cmp_ne_u32_e64 s6, 0, v29
	v_and_b32_e32 v25, v25, v26
	v_cndmask_b32_e64 v12, 1, v52, s0
	v_cmp_eq_u32_e64 s0, 0, v30
	v_cndmask_b32_e64 v26, 1, 2, s0
	v_cmp_ne_u32_e64 s0, 10, v17
	v_and_b32_e32 v25, v25, v26
	v_cndmask_b32_e64 v43, 1, v50, s0
	v_cmp_ne_u32_e64 s0, 12, v17
	v_cndmask_b32_e32 v43, v50, v43, vcc_lo
	v_cndmask_b32_e64 v56, 1, v46, s0
	v_cmp_eq_u32_e64 s0, 0, v24
	v_cndmask_b32_e32 v50, v52, v12, vcc_lo
	v_cmp_ne_u32_e64 s4, 0, v43
	v_cndmask_b32_e32 v46, v46, v56, vcc_lo
	v_cndmask_b32_e64 v26, 1, 2, s0
	v_cmp_ne_u32_e64 s0, 13, v17
	v_cmp_ne_u32_e64 s5, 0, v50
	;; [unrolled: 1-line block ×3, first 2 shown]
	v_and_b32_e32 v25, v25, v26
	v_cndmask_b32_e64 v57, 1, v44, s0
	v_cmp_eq_u32_e64 s0, 0, v27
	v_cndmask_b32_e32 v44, v44, v57, vcc_lo
	v_cndmask_b32_e64 v26, 1, 2, s0
	v_cmp_ne_u32_e64 s0, 11, v17
	v_cmp_ne_u32_e64 s1, 0, v44
	v_and_b32_e32 v25, v25, v26
	v_cndmask_b32_e64 v17, 1, v48, s0
	v_cmp_eq_u32_e64 s0, 0, v28
	v_cndmask_b32_e32 v48, v48, v17, vcc_lo
	v_cmp_eq_u32_e32 vcc_lo, 0, v29
	v_cndmask_b32_e64 v26, 1, 2, s0
	v_cmp_ne_u32_e64 s0, 0, v21
	v_cmp_ne_u32_e64 s3, 0, v48
	v_cndmask_b32_e64 v17, 1, 2, vcc_lo
	v_add_co_u32 v2, vcc_lo, s28, v2
	v_and_b32_e32 v12, v25, v26
	v_add_co_ci_u32_e64 v3, null, s29, v3, vcc_lo
	v_cmp_eq_u32_e32 vcc_lo, 0, v50
	v_and_b32_e32 v12, v12, v17
	v_cndmask_b32_e64 v17, 1, 2, vcc_lo
	v_add_co_u32 v9, vcc_lo, v2, v9
	v_add_co_ci_u32_e64 v10, null, v3, v10, vcc_lo
	v_lshlrev_b32_e32 v2, 2, v18
	v_cmp_eq_u32_e32 vcc_lo, 0, v43
	v_and_b32_e32 v3, v12, v17
	v_cndmask_b32_e64 v12, 1, 2, vcc_lo
	v_add_co_u32 v2, vcc_lo, v9, v2
	v_add_co_ci_u32_e64 v17, null, 0, v10, vcc_lo
	v_cmp_eq_u32_e32 vcc_lo, 0, v48
	v_and_b32_e32 v3, v3, v12
	v_cndmask_b32_e64 v25, 1, 2, vcc_lo
	v_add_co_u32 v12, vcc_lo, v2, -4
	v_add_co_ci_u32_e64 v17, null, -1, v17, vcc_lo
	v_cmp_eq_u32_e32 vcc_lo, 0, v46
	v_add_nc_u32_e32 v2, v5, v18
	v_and_b32_e32 v3, v3, v25
	v_cndmask_b32_e64 v18, 1, 2, vcc_lo
	v_cmp_eq_u32_e32 vcc_lo, 0, v44
	v_and_b32_e32 v3, v3, v18
	v_cndmask_b32_e64 v18, 1, 2, vcc_lo
	v_cmp_eq_u32_e32 vcc_lo, 0, v21
	v_and_b32_e32 v3, v3, v18
	v_cndmask_b32_e64 v18, 1, 2, vcc_lo
	v_cmp_gt_u32_e32 vcc_lo, 0x100, v11
	v_and_b32_e32 v3, v3, v18
	v_cmp_gt_i16_e64 s15, 2, v3
	s_cbranch_vccnz .LBB104_151
; %bb.148:
	s_and_b32 vcc_lo, exec_lo, s16
	s_cbranch_vccnz .LBB104_157
.LBB104_149:
	v_cmp_eq_u32_e32 vcc_lo, 0xff, v0
	s_and_b32 s0, vcc_lo, s17
	s_and_saveexec_b32 s1, s0
	s_cbranch_execnz .LBB104_166
.LBB104_150:
	s_endpgm
.LBB104_151:
	s_and_saveexec_b32 s16, s15
	s_cbranch_execz .LBB104_156
; %bb.152:
	s_mov_b32 s18, 0
	s_mov_b32 s15, exec_lo
	v_cmpx_ne_u16_e32 1, v3
	s_xor_b32 s15, exec_lo, s15
	s_cbranch_execnz .LBB104_202
; %bb.153:
	s_andn2_saveexec_b32 s15, s15
	s_cbranch_execnz .LBB104_218
.LBB104_154:
	s_or_b32 exec_lo, exec_lo, s15
	s_and_b32 exec_lo, exec_lo, s18
	s_cbranch_execz .LBB104_156
.LBB104_155:
	v_sub_nc_u32_e32 v18, v6, v2
	v_mov_b32_e32 v19, 0
	v_lshlrev_b64 v[18:19], 2, v[18:19]
	v_add_co_u32 v18, vcc_lo, v12, v18
	v_add_co_ci_u32_e64 v19, null, v17, v19, vcc_lo
	global_store_dword v[18:19], v42, off
.LBB104_156:
	s_or_b32 exec_lo, exec_lo, s16
	s_branch .LBB104_149
.LBB104_157:
	s_mov_b32 s15, exec_lo
	v_cmpx_gt_i16_e32 2, v3
	s_cbranch_execz .LBB104_162
; %bb.158:
	s_mov_b32 s18, 0
	s_mov_b32 s16, exec_lo
	v_cmpx_ne_u16_e32 1, v3
	s_xor_b32 s16, exec_lo, s16
	s_cbranch_execnz .LBB104_219
; %bb.159:
	s_andn2_saveexec_b32 s0, s16
	s_cbranch_execnz .LBB104_235
.LBB104_160:
	s_or_b32 exec_lo, exec_lo, s0
	s_and_b32 exec_lo, exec_lo, s18
.LBB104_161:
	v_sub_nc_u32_e32 v2, v6, v2
	v_lshlrev_b32_e32 v2, 2, v2
	ds_write_b32 v2, v42
.LBB104_162:
	s_or_b32 exec_lo, exec_lo, s15
	s_mov_b32 s1, exec_lo
	s_waitcnt lgkmcnt(0)
	s_waitcnt_vscnt null, 0x0
	s_barrier
	buffer_gl0_inv
	v_cmpx_lt_u32_e64 v0, v11
	s_cbranch_execz .LBB104_165
; %bb.163:
	v_lshlrev_b32_e32 v4, 2, v0
	v_mov_b32_e32 v3, 0
	v_mov_b32_e32 v2, v0
	s_mov_b32 s2, 0
	.p2align	6
.LBB104_164:                            ; =>This Inner Loop Header: Depth=1
	ds_read_b32 v6, v4
	v_lshlrev_b64 v[13:14], 2, v[2:3]
	v_add_nc_u32_e32 v2, 0x100, v2
	v_add_nc_u32_e32 v4, 0x400, v4
	v_cmp_ge_u32_e32 vcc_lo, v2, v11
	v_add_co_u32 v13, s0, v12, v13
	v_add_co_ci_u32_e64 v14, null, v17, v14, s0
	s_or_b32 s2, vcc_lo, s2
	s_waitcnt lgkmcnt(0)
	global_store_dword v[13:14], v6, off
	s_andn2_b32 exec_lo, exec_lo, s2
	s_cbranch_execnz .LBB104_164
.LBB104_165:
	s_or_b32 exec_lo, exec_lo, s1
	v_cmp_eq_u32_e32 vcc_lo, 0xff, v0
	s_and_b32 s0, vcc_lo, s17
	s_and_saveexec_b32 s1, s0
	s_cbranch_execz .LBB104_150
.LBB104_166:
	v_add_co_u32 v0, s0, v1, v5
	v_add_co_ci_u32_e64 v4, null, 0, 0, s0
	v_mov_b32_e32 v2, 0
	v_add_co_u32 v3, vcc_lo, v0, v7
	v_add_co_ci_u32_e64 v4, null, v4, v8, vcc_lo
	s_cmpk_lg_i32 s26, 0xf00
	global_store_dwordx2 v2, v[3:4], s[30:31]
	s_cbranch_scc1 .LBB104_150
; %bb.167:
	v_lshlrev_b64 v[0:1], 2, v[1:2]
	v_add_co_u32 v0, vcc_lo, v9, v0
	v_add_co_ci_u32_e64 v1, null, v10, v1, vcc_lo
	global_store_dword v[0:1], v37, off offset:-4
	s_endpgm
.LBB104_168:
	s_and_saveexec_b32 s19, s13
	s_cbranch_execnz .LBB104_236
; %bb.169:
	s_or_b32 exec_lo, exec_lo, s19
	s_and_saveexec_b32 s19, s12
	s_cbranch_execnz .LBB104_237
.LBB104_170:
	s_or_b32 exec_lo, exec_lo, s19
	s_and_saveexec_b32 s19, s10
	s_cbranch_execnz .LBB104_238
.LBB104_171:
	s_or_b32 exec_lo, exec_lo, s19
	s_and_saveexec_b32 s19, s9
	s_cbranch_execnz .LBB104_239
.LBB104_172:
	s_or_b32 exec_lo, exec_lo, s19
	s_and_saveexec_b32 s19, s15
	s_cbranch_execnz .LBB104_240
.LBB104_173:
	s_or_b32 exec_lo, exec_lo, s19
	s_and_saveexec_b32 s19, s14
	s_cbranch_execnz .LBB104_241
.LBB104_174:
	s_or_b32 exec_lo, exec_lo, s19
	s_and_saveexec_b32 s19, s11
	s_cbranch_execnz .LBB104_242
.LBB104_175:
	s_or_b32 exec_lo, exec_lo, s19
	s_and_saveexec_b32 s19, s8
	s_cbranch_execnz .LBB104_243
.LBB104_176:
	s_or_b32 exec_lo, exec_lo, s19
	s_and_saveexec_b32 s19, s7
	s_cbranch_execnz .LBB104_244
.LBB104_177:
	s_or_b32 exec_lo, exec_lo, s19
	s_and_saveexec_b32 s19, s6
	s_cbranch_execnz .LBB104_245
.LBB104_178:
	s_or_b32 exec_lo, exec_lo, s19
	s_and_saveexec_b32 s19, s5
	s_cbranch_execnz .LBB104_246
.LBB104_179:
	s_or_b32 exec_lo, exec_lo, s19
	s_and_saveexec_b32 s19, s4
	s_cbranch_execnz .LBB104_247
.LBB104_180:
	s_or_b32 exec_lo, exec_lo, s19
	s_and_saveexec_b32 s19, s3
	s_cbranch_execnz .LBB104_248
.LBB104_181:
	s_or_b32 exec_lo, exec_lo, s19
	s_and_saveexec_b32 s19, s2
	s_cbranch_execz .LBB104_183
.LBB104_182:
	v_sub_nc_u32_e32 v74, v13, v5
	v_mov_b32_e32 v75, 0
	v_lshlrev_b64 v[74:75], 2, v[74:75]
	v_add_co_u32 v74, vcc_lo, v72, v74
	v_add_co_ci_u32_e64 v75, null, v73, v75, vcc_lo
	global_store_dword v[74:75], v18, off
.LBB104_183:
	s_or_b32 exec_lo, exec_lo, s19
	s_and_b32 s19, s1, exec_lo
	s_andn2_saveexec_b32 s16, s16
	s_cbranch_execz .LBB104_134
.LBB104_184:
	v_sub_nc_u32_e32 v74, v4, v5
	v_mov_b32_e32 v75, 0
	s_or_b32 s19, s19, exec_lo
	v_lshlrev_b64 v[76:77], 2, v[74:75]
	v_sub_nc_u32_e32 v74, v65, v5
	v_lshlrev_b64 v[78:79], 2, v[74:75]
	v_sub_nc_u32_e32 v74, v71, v5
	v_add_co_u32 v76, vcc_lo, v72, v76
	v_add_co_ci_u32_e64 v77, null, v73, v77, vcc_lo
	v_lshlrev_b64 v[80:81], 2, v[74:75]
	v_sub_nc_u32_e32 v74, v70, v5
	v_add_co_u32 v78, vcc_lo, v72, v78
	v_add_co_ci_u32_e64 v79, null, v73, v79, vcc_lo
	global_store_dword v[76:77], v29, off
	v_lshlrev_b64 v[76:77], 2, v[74:75]
	v_sub_nc_u32_e32 v74, v36, v5
	global_store_dword v[78:79], v30, off
	v_add_co_u32 v78, vcc_lo, v72, v80
	v_add_co_ci_u32_e64 v79, null, v73, v81, vcc_lo
	v_lshlrev_b64 v[80:81], 2, v[74:75]
	v_sub_nc_u32_e32 v74, v35, v5
	v_add_co_u32 v76, vcc_lo, v72, v76
	v_add_co_ci_u32_e64 v77, null, v73, v77, vcc_lo
	v_lshlrev_b64 v[82:83], 2, v[74:75]
	v_sub_nc_u32_e32 v74, v34, v5
	;; [unrolled: 4-line block ×3, first 2 shown]
	v_add_co_u32 v82, vcc_lo, v72, v82
	v_add_co_ci_u32_e64 v83, null, v73, v83, vcc_lo
	global_store_dword v[78:79], v27, off
	global_store_dword v[76:77], v28, off
	;; [unrolled: 1-line block ×4, first 2 shown]
	v_lshlrev_b64 v[76:77], 2, v[74:75]
	v_sub_nc_u32_e32 v74, v32, v5
	v_add_co_u32 v78, vcc_lo, v72, v84
	v_add_co_ci_u32_e64 v79, null, v73, v85, vcc_lo
	v_lshlrev_b64 v[80:81], 2, v[74:75]
	v_sub_nc_u32_e32 v74, v31, v5
	v_add_co_u32 v76, vcc_lo, v72, v76
	v_add_co_ci_u32_e64 v77, null, v73, v77, vcc_lo
	;; [unrolled: 4-line block ×4, first 2 shown]
	global_store_dword v[78:79], v23, off
	global_store_dword v[76:77], v24, off
	;; [unrolled: 1-line block ×4, first 2 shown]
	v_lshlrev_b64 v[76:77], 2, v[74:75]
	v_sub_nc_u32_e32 v74, v14, v5
	v_add_co_u32 v78, vcc_lo, v72, v84
	v_add_co_ci_u32_e64 v79, null, v73, v85, vcc_lo
	v_lshlrev_b64 v[80:81], 2, v[74:75]
	v_sub_nc_u32_e32 v74, v13, v5
	v_add_co_u32 v76, vcc_lo, v72, v76
	v_add_co_ci_u32_e64 v77, null, v73, v77, vcc_lo
	v_lshlrev_b64 v[74:75], 2, v[74:75]
	v_add_co_u32 v80, vcc_lo, v72, v80
	v_add_co_ci_u32_e64 v81, null, v73, v81, vcc_lo
	global_store_dword v[78:79], v19, off
	global_store_dword v[76:77], v20, off
	;; [unrolled: 1-line block ×3, first 2 shown]
	v_add_co_u32 v74, vcc_lo, v72, v74
	v_add_co_ci_u32_e64 v75, null, v73, v75, vcc_lo
	global_store_dword v[74:75], v18, off
	s_or_b32 exec_lo, exec_lo, s16
	s_and_b32 exec_lo, exec_lo, s19
	s_cbranch_execnz .LBB104_135
	s_branch .LBB104_136
.LBB104_185:
	s_and_saveexec_b32 s19, s13
	s_cbranch_execnz .LBB104_249
; %bb.186:
	s_or_b32 exec_lo, exec_lo, s19
	s_and_saveexec_b32 s13, s12
	s_cbranch_execnz .LBB104_250
.LBB104_187:
	s_or_b32 exec_lo, exec_lo, s13
	s_and_saveexec_b32 s12, s10
	s_cbranch_execnz .LBB104_251
.LBB104_188:
	s_or_b32 exec_lo, exec_lo, s12
	s_and_saveexec_b32 s10, s9
	s_cbranch_execnz .LBB104_252
.LBB104_189:
	s_or_b32 exec_lo, exec_lo, s10
	s_and_saveexec_b32 s9, s15
	s_cbranch_execnz .LBB104_253
.LBB104_190:
	s_or_b32 exec_lo, exec_lo, s9
	s_and_saveexec_b32 s9, s14
	s_cbranch_execnz .LBB104_254
.LBB104_191:
	s_or_b32 exec_lo, exec_lo, s9
	s_and_saveexec_b32 s9, s11
	s_cbranch_execnz .LBB104_255
.LBB104_192:
	s_or_b32 exec_lo, exec_lo, s9
	s_and_saveexec_b32 s9, s8
	s_cbranch_execnz .LBB104_256
.LBB104_193:
	s_or_b32 exec_lo, exec_lo, s9
	s_and_saveexec_b32 s8, s7
	s_cbranch_execnz .LBB104_257
.LBB104_194:
	s_or_b32 exec_lo, exec_lo, s8
	s_and_saveexec_b32 s7, s6
	s_cbranch_execnz .LBB104_258
.LBB104_195:
	s_or_b32 exec_lo, exec_lo, s7
	s_and_saveexec_b32 s6, s5
	s_cbranch_execnz .LBB104_259
.LBB104_196:
	s_or_b32 exec_lo, exec_lo, s6
	s_and_saveexec_b32 s5, s4
	s_cbranch_execnz .LBB104_260
.LBB104_197:
	s_or_b32 exec_lo, exec_lo, s5
	s_and_saveexec_b32 s4, s3
	s_cbranch_execnz .LBB104_261
.LBB104_198:
	s_or_b32 exec_lo, exec_lo, s4
	s_and_saveexec_b32 s3, s2
.LBB104_199:
	v_sub_nc_u32_e32 v11, v13, v5
	v_lshlrev_b32_e32 v11, 2, v11
	ds_write_b32 v11, v18
.LBB104_200:
	s_or_b32 exec_lo, exec_lo, s3
	s_and_b32 s19, s1, exec_lo
                                        ; implicit-def: $vgpr29
                                        ; implicit-def: $vgpr27
                                        ; implicit-def: $vgpr25
                                        ; implicit-def: $vgpr23
                                        ; implicit-def: $vgpr21
                                        ; implicit-def: $vgpr19
                                        ; implicit-def: $vgpr17
	s_andn2_saveexec_b32 s1, s18
	s_cbranch_execz .LBB104_141
.LBB104_201:
	v_sub_nc_u32_e32 v11, v4, v5
	v_sub_nc_u32_e32 v12, v65, v5
	;; [unrolled: 1-line block ×4, first 2 shown]
	s_or_b32 s19, s19, exec_lo
	v_lshlrev_b32_e32 v11, 2, v11
	v_lshlrev_b32_e32 v12, 2, v12
	;; [unrolled: 1-line block ×4, first 2 shown]
	ds_write_b32 v11, v29
	ds_write_b32 v12, v30
	;; [unrolled: 1-line block ×3, first 2 shown]
	v_sub_nc_u32_e32 v11, v36, v5
	v_sub_nc_u32_e32 v12, v35, v5
	;; [unrolled: 1-line block ×3, first 2 shown]
	ds_write_b32 v75, v28
	v_sub_nc_u32_e32 v28, v33, v5
	v_lshlrev_b32_e32 v11, 2, v11
	v_sub_nc_u32_e32 v29, v32, v5
	v_lshlrev_b32_e32 v12, 2, v12
	v_lshlrev_b32_e32 v27, 2, v27
	v_lshlrev_b32_e32 v28, 2, v28
	ds_write_b32 v11, v25
	v_lshlrev_b32_e32 v11, 2, v29
	ds_write_b32 v12, v26
	ds_write_b32 v27, v23
	;; [unrolled: 1-line block ×3, first 2 shown]
	v_sub_nc_u32_e32 v12, v31, v5
	v_sub_nc_u32_e32 v24, v13, v5
	;; [unrolled: 1-line block ×3, first 2 shown]
	ds_write_b32 v11, v21
	v_sub_nc_u32_e32 v11, v16, v5
	v_lshlrev_b32_e32 v12, 2, v12
	v_sub_nc_u32_e32 v21, v15, v5
	v_lshlrev_b32_e32 v23, 2, v23
	v_lshlrev_b32_e32 v11, 2, v11
	ds_write_b32 v12, v22
	v_lshlrev_b32_e32 v12, 2, v24
	v_lshlrev_b32_e32 v21, 2, v21
	ds_write_b32 v11, v19
	ds_write_b32 v21, v20
	;; [unrolled: 1-line block ×4, first 2 shown]
	s_or_b32 exec_lo, exec_lo, s1
	s_and_b32 exec_lo, exec_lo, s19
	s_cbranch_execnz .LBB104_142
	s_branch .LBB104_143
.LBB104_202:
	s_and_saveexec_b32 s18, s14
	s_cbranch_execnz .LBB104_262
; %bb.203:
	s_or_b32 exec_lo, exec_lo, s18
	s_and_saveexec_b32 s18, s13
	s_cbranch_execnz .LBB104_263
.LBB104_204:
	s_or_b32 exec_lo, exec_lo, s18
	s_and_saveexec_b32 s18, s12
	s_cbranch_execnz .LBB104_264
.LBB104_205:
	s_or_b32 exec_lo, exec_lo, s18
	s_and_saveexec_b32 s18, s11
	s_cbranch_execnz .LBB104_265
.LBB104_206:
	s_or_b32 exec_lo, exec_lo, s18
	s_and_saveexec_b32 s18, s10
	s_cbranch_execnz .LBB104_266
.LBB104_207:
	s_or_b32 exec_lo, exec_lo, s18
	s_and_saveexec_b32 s18, s9
	s_cbranch_execnz .LBB104_267
.LBB104_208:
	s_or_b32 exec_lo, exec_lo, s18
	s_and_saveexec_b32 s18, s8
	s_cbranch_execnz .LBB104_268
.LBB104_209:
	s_or_b32 exec_lo, exec_lo, s18
	s_and_saveexec_b32 s18, s7
	s_cbranch_execnz .LBB104_269
.LBB104_210:
	s_or_b32 exec_lo, exec_lo, s18
	s_and_saveexec_b32 s18, s6
	s_cbranch_execnz .LBB104_270
.LBB104_211:
	s_or_b32 exec_lo, exec_lo, s18
	s_and_saveexec_b32 s18, s5
	s_cbranch_execnz .LBB104_271
.LBB104_212:
	s_or_b32 exec_lo, exec_lo, s18
	s_and_saveexec_b32 s18, s4
	s_cbranch_execnz .LBB104_272
.LBB104_213:
	s_or_b32 exec_lo, exec_lo, s18
	s_and_saveexec_b32 s18, s3
	s_cbranch_execnz .LBB104_273
.LBB104_214:
	s_or_b32 exec_lo, exec_lo, s18
	s_and_saveexec_b32 s18, s2
	s_cbranch_execnz .LBB104_274
.LBB104_215:
	s_or_b32 exec_lo, exec_lo, s18
	s_and_saveexec_b32 s18, s1
	s_cbranch_execz .LBB104_217
.LBB104_216:
	v_sub_nc_u32_e32 v18, v13, v2
	v_mov_b32_e32 v19, 0
	v_lshlrev_b64 v[18:19], 2, v[18:19]
	v_add_co_u32 v18, vcc_lo, v12, v18
	v_add_co_ci_u32_e64 v19, null, v17, v19, vcc_lo
	global_store_dword v[18:19], v38, off
.LBB104_217:
	s_or_b32 exec_lo, exec_lo, s18
	s_and_b32 s18, s0, exec_lo
	s_andn2_saveexec_b32 s15, s15
	s_cbranch_execz .LBB104_154
.LBB104_218:
	v_sub_nc_u32_e32 v18, v4, v2
	v_mov_b32_e32 v19, 0
	s_or_b32 s18, s18, exec_lo
	v_lshlrev_b64 v[20:21], 2, v[18:19]
	v_sub_nc_u32_e32 v18, v65, v2
	v_lshlrev_b64 v[22:23], 2, v[18:19]
	v_sub_nc_u32_e32 v18, v71, v2
	v_add_co_u32 v20, vcc_lo, v12, v20
	v_add_co_ci_u32_e64 v21, null, v17, v21, vcc_lo
	v_lshlrev_b64 v[24:25], 2, v[18:19]
	v_sub_nc_u32_e32 v18, v70, v2
	v_add_co_u32 v22, vcc_lo, v12, v22
	v_add_co_ci_u32_e64 v23, null, v17, v23, vcc_lo
	global_store_dword v[20:21], v68, off
	v_lshlrev_b64 v[20:21], 2, v[18:19]
	v_sub_nc_u32_e32 v18, v36, v2
	global_store_dword v[22:23], v66, off
	v_add_co_u32 v22, vcc_lo, v12, v24
	v_add_co_ci_u32_e64 v23, null, v17, v25, vcc_lo
	v_lshlrev_b64 v[24:25], 2, v[18:19]
	v_sub_nc_u32_e32 v18, v35, v2
	v_add_co_u32 v20, vcc_lo, v12, v20
	v_add_co_ci_u32_e64 v21, null, v17, v21, vcc_lo
	v_lshlrev_b64 v[26:27], 2, v[18:19]
	v_sub_nc_u32_e32 v18, v34, v2
	;; [unrolled: 4-line block ×3, first 2 shown]
	v_add_co_u32 v26, vcc_lo, v12, v26
	v_add_co_ci_u32_e64 v27, null, v17, v27, vcc_lo
	global_store_dword v[22:23], v69, off
	global_store_dword v[20:21], v67, off
	;; [unrolled: 1-line block ×4, first 2 shown]
	v_lshlrev_b64 v[20:21], 2, v[18:19]
	v_sub_nc_u32_e32 v18, v32, v2
	v_add_co_u32 v22, vcc_lo, v12, v28
	v_add_co_ci_u32_e64 v23, null, v17, v29, vcc_lo
	v_lshlrev_b64 v[24:25], 2, v[18:19]
	v_sub_nc_u32_e32 v18, v31, v2
	v_add_co_u32 v20, vcc_lo, v12, v20
	v_add_co_ci_u32_e64 v21, null, v17, v21, vcc_lo
	;; [unrolled: 4-line block ×4, first 2 shown]
	global_store_dword v[22:23], v51, off
	global_store_dword v[20:21], v49, off
	global_store_dword v[24:25], v47, off
	global_store_dword v[26:27], v45, off
	v_lshlrev_b64 v[20:21], 2, v[18:19]
	v_sub_nc_u32_e32 v18, v14, v2
	v_add_co_u32 v22, vcc_lo, v12, v28
	v_add_co_ci_u32_e64 v23, null, v17, v29, vcc_lo
	v_lshlrev_b64 v[24:25], 2, v[18:19]
	v_sub_nc_u32_e32 v18, v13, v2
	v_add_co_u32 v20, vcc_lo, v12, v20
	v_add_co_ci_u32_e64 v21, null, v17, v21, vcc_lo
	v_lshlrev_b64 v[18:19], 2, v[18:19]
	v_add_co_u32 v24, vcc_lo, v12, v24
	v_add_co_ci_u32_e64 v25, null, v17, v25, vcc_lo
	global_store_dword v[22:23], v41, off
	global_store_dword v[20:21], v39, off
	;; [unrolled: 1-line block ×3, first 2 shown]
	v_add_co_u32 v18, vcc_lo, v12, v18
	v_add_co_ci_u32_e64 v19, null, v17, v19, vcc_lo
	global_store_dword v[18:19], v38, off
	s_or_b32 exec_lo, exec_lo, s15
	s_and_b32 exec_lo, exec_lo, s18
	s_cbranch_execnz .LBB104_155
	s_branch .LBB104_156
.LBB104_219:
	s_and_saveexec_b32 s18, s14
	s_cbranch_execnz .LBB104_275
; %bb.220:
	s_or_b32 exec_lo, exec_lo, s18
	s_and_saveexec_b32 s14, s13
	s_cbranch_execnz .LBB104_276
.LBB104_221:
	s_or_b32 exec_lo, exec_lo, s14
	s_and_saveexec_b32 s13, s12
	s_cbranch_execnz .LBB104_277
.LBB104_222:
	s_or_b32 exec_lo, exec_lo, s13
	s_and_saveexec_b32 s12, s11
	s_cbranch_execnz .LBB104_278
.LBB104_223:
	s_or_b32 exec_lo, exec_lo, s12
	s_and_saveexec_b32 s11, s10
	s_cbranch_execnz .LBB104_279
.LBB104_224:
	s_or_b32 exec_lo, exec_lo, s11
	s_and_saveexec_b32 s10, s9
	s_cbranch_execnz .LBB104_280
.LBB104_225:
	s_or_b32 exec_lo, exec_lo, s10
	s_and_saveexec_b32 s9, s8
	s_cbranch_execnz .LBB104_281
.LBB104_226:
	s_or_b32 exec_lo, exec_lo, s9
	s_and_saveexec_b32 s8, s7
	s_cbranch_execnz .LBB104_282
.LBB104_227:
	s_or_b32 exec_lo, exec_lo, s8
	s_and_saveexec_b32 s7, s6
	s_cbranch_execnz .LBB104_283
.LBB104_228:
	s_or_b32 exec_lo, exec_lo, s7
	s_and_saveexec_b32 s6, s5
	s_cbranch_execnz .LBB104_284
.LBB104_229:
	s_or_b32 exec_lo, exec_lo, s6
	s_and_saveexec_b32 s5, s4
	s_cbranch_execnz .LBB104_285
.LBB104_230:
	s_or_b32 exec_lo, exec_lo, s5
	s_and_saveexec_b32 s4, s3
	s_cbranch_execnz .LBB104_286
.LBB104_231:
	s_or_b32 exec_lo, exec_lo, s4
	s_and_saveexec_b32 s3, s2
	s_cbranch_execnz .LBB104_287
.LBB104_232:
	s_or_b32 exec_lo, exec_lo, s3
	s_and_saveexec_b32 s2, s1
.LBB104_233:
	v_sub_nc_u32_e32 v3, v13, v2
	v_lshlrev_b32_e32 v3, 2, v3
	ds_write_b32 v3, v38
.LBB104_234:
	s_or_b32 exec_lo, exec_lo, s2
	s_and_b32 s18, s0, exec_lo
                                        ; implicit-def: $vgpr68
                                        ; implicit-def: $vgpr66
                                        ; implicit-def: $vgpr38
                                        ; implicit-def: $vgpr40
                                        ; implicit-def: $vgpr39
                                        ; implicit-def: $vgpr41
                                        ; implicit-def: $vgpr45
                                        ; implicit-def: $vgpr47
                                        ; implicit-def: $vgpr49
                                        ; implicit-def: $vgpr51
                                        ; implicit-def: $vgpr53
                                        ; implicit-def: $vgpr55
                                        ; implicit-def: $vgpr67
                                        ; implicit-def: $vgpr69
                                        ; implicit-def: $vgpr65
                                        ; implicit-def: $vgpr71
                                        ; implicit-def: $vgpr70
                                        ; implicit-def: $vgpr36
                                        ; implicit-def: $vgpr35
                                        ; implicit-def: $vgpr34
                                        ; implicit-def: $vgpr33
                                        ; implicit-def: $vgpr32
                                        ; implicit-def: $vgpr31
                                        ; implicit-def: $vgpr16
                                        ; implicit-def: $vgpr15
                                        ; implicit-def: $vgpr14
                                        ; implicit-def: $vgpr13
	s_andn2_saveexec_b32 s0, s16
	s_cbranch_execz .LBB104_160
.LBB104_235:
	v_sub_nc_u32_e32 v3, v4, v2
	v_sub_nc_u32_e32 v4, v65, v2
	;; [unrolled: 1-line block ×5, first 2 shown]
	v_lshlrev_b32_e32 v3, 2, v3
	v_lshlrev_b32_e32 v4, 2, v4
	;; [unrolled: 1-line block ×4, first 2 shown]
	v_sub_nc_u32_e32 v13, v13, v2
	ds_write_b32 v3, v68
	ds_write_b32 v4, v66
	;; [unrolled: 1-line block ×3, first 2 shown]
	v_sub_nc_u32_e32 v3, v36, v2
	v_sub_nc_u32_e32 v4, v35, v2
	;; [unrolled: 1-line block ×3, first 2 shown]
	ds_write_b32 v19, v67
	v_sub_nc_u32_e32 v19, v33, v2
	v_lshlrev_b32_e32 v3, 2, v3
	v_lshlrev_b32_e32 v4, 2, v4
	;; [unrolled: 1-line block ×3, first 2 shown]
	v_sub_nc_u32_e32 v15, v15, v2
	v_lshlrev_b32_e32 v19, 2, v19
	ds_write_b32 v3, v55
	v_lshlrev_b32_e32 v3, 2, v20
	ds_write_b32 v4, v53
	ds_write_b32 v18, v51
	;; [unrolled: 1-line block ×3, first 2 shown]
	v_sub_nc_u32_e32 v4, v31, v2
	v_sub_nc_u32_e32 v14, v14, v2
	v_lshlrev_b32_e32 v15, 2, v15
	ds_write_b32 v3, v47
	v_sub_nc_u32_e32 v3, v16, v2
	v_lshlrev_b32_e32 v4, 2, v4
	v_lshlrev_b32_e32 v14, 2, v14
	s_or_b32 s18, s18, exec_lo
	v_lshlrev_b32_e32 v3, 2, v3
	ds_write_b32 v4, v45
	v_lshlrev_b32_e32 v4, 2, v13
	ds_write_b32 v3, v41
	ds_write_b32 v15, v39
	;; [unrolled: 1-line block ×4, first 2 shown]
	s_or_b32 exec_lo, exec_lo, s0
	s_and_b32 exec_lo, exec_lo, s18
	s_cbranch_execnz .LBB104_161
	s_branch .LBB104_162
.LBB104_236:
	v_sub_nc_u32_e32 v74, v4, v5
	v_mov_b32_e32 v75, 0
	v_lshlrev_b64 v[74:75], 2, v[74:75]
	v_add_co_u32 v74, vcc_lo, v72, v74
	v_add_co_ci_u32_e64 v75, null, v73, v75, vcc_lo
	global_store_dword v[74:75], v29, off
	s_or_b32 exec_lo, exec_lo, s19
	s_and_saveexec_b32 s19, s12
	s_cbranch_execz .LBB104_170
.LBB104_237:
	v_sub_nc_u32_e32 v74, v65, v5
	v_mov_b32_e32 v75, 0
	v_lshlrev_b64 v[74:75], 2, v[74:75]
	v_add_co_u32 v74, vcc_lo, v72, v74
	v_add_co_ci_u32_e64 v75, null, v73, v75, vcc_lo
	global_store_dword v[74:75], v30, off
	s_or_b32 exec_lo, exec_lo, s19
	s_and_saveexec_b32 s19, s10
	s_cbranch_execz .LBB104_171
.LBB104_238:
	v_sub_nc_u32_e32 v74, v71, v5
	v_mov_b32_e32 v75, 0
	v_lshlrev_b64 v[74:75], 2, v[74:75]
	v_add_co_u32 v74, vcc_lo, v72, v74
	v_add_co_ci_u32_e64 v75, null, v73, v75, vcc_lo
	global_store_dword v[74:75], v27, off
	s_or_b32 exec_lo, exec_lo, s19
	s_and_saveexec_b32 s19, s9
	s_cbranch_execz .LBB104_172
.LBB104_239:
	v_sub_nc_u32_e32 v74, v70, v5
	v_mov_b32_e32 v75, 0
	v_lshlrev_b64 v[74:75], 2, v[74:75]
	v_add_co_u32 v74, vcc_lo, v72, v74
	v_add_co_ci_u32_e64 v75, null, v73, v75, vcc_lo
	global_store_dword v[74:75], v28, off
	s_or_b32 exec_lo, exec_lo, s19
	s_and_saveexec_b32 s19, s15
	s_cbranch_execz .LBB104_173
.LBB104_240:
	v_sub_nc_u32_e32 v74, v36, v5
	v_mov_b32_e32 v75, 0
	v_lshlrev_b64 v[74:75], 2, v[74:75]
	v_add_co_u32 v74, vcc_lo, v72, v74
	v_add_co_ci_u32_e64 v75, null, v73, v75, vcc_lo
	global_store_dword v[74:75], v25, off
	s_or_b32 exec_lo, exec_lo, s19
	s_and_saveexec_b32 s19, s14
	s_cbranch_execz .LBB104_174
.LBB104_241:
	v_sub_nc_u32_e32 v74, v35, v5
	v_mov_b32_e32 v75, 0
	v_lshlrev_b64 v[74:75], 2, v[74:75]
	v_add_co_u32 v74, vcc_lo, v72, v74
	v_add_co_ci_u32_e64 v75, null, v73, v75, vcc_lo
	global_store_dword v[74:75], v26, off
	s_or_b32 exec_lo, exec_lo, s19
	s_and_saveexec_b32 s19, s11
	s_cbranch_execz .LBB104_175
.LBB104_242:
	v_sub_nc_u32_e32 v74, v34, v5
	v_mov_b32_e32 v75, 0
	v_lshlrev_b64 v[74:75], 2, v[74:75]
	v_add_co_u32 v74, vcc_lo, v72, v74
	v_add_co_ci_u32_e64 v75, null, v73, v75, vcc_lo
	global_store_dword v[74:75], v23, off
	s_or_b32 exec_lo, exec_lo, s19
	s_and_saveexec_b32 s19, s8
	s_cbranch_execz .LBB104_176
.LBB104_243:
	v_sub_nc_u32_e32 v74, v33, v5
	v_mov_b32_e32 v75, 0
	v_lshlrev_b64 v[74:75], 2, v[74:75]
	v_add_co_u32 v74, vcc_lo, v72, v74
	v_add_co_ci_u32_e64 v75, null, v73, v75, vcc_lo
	global_store_dword v[74:75], v24, off
	s_or_b32 exec_lo, exec_lo, s19
	s_and_saveexec_b32 s19, s7
	s_cbranch_execz .LBB104_177
.LBB104_244:
	v_sub_nc_u32_e32 v74, v32, v5
	v_mov_b32_e32 v75, 0
	v_lshlrev_b64 v[74:75], 2, v[74:75]
	v_add_co_u32 v74, vcc_lo, v72, v74
	v_add_co_ci_u32_e64 v75, null, v73, v75, vcc_lo
	global_store_dword v[74:75], v21, off
	s_or_b32 exec_lo, exec_lo, s19
	s_and_saveexec_b32 s19, s6
	s_cbranch_execz .LBB104_178
.LBB104_245:
	v_sub_nc_u32_e32 v74, v31, v5
	v_mov_b32_e32 v75, 0
	v_lshlrev_b64 v[74:75], 2, v[74:75]
	v_add_co_u32 v74, vcc_lo, v72, v74
	v_add_co_ci_u32_e64 v75, null, v73, v75, vcc_lo
	global_store_dword v[74:75], v22, off
	s_or_b32 exec_lo, exec_lo, s19
	s_and_saveexec_b32 s19, s5
	s_cbranch_execz .LBB104_179
.LBB104_246:
	v_sub_nc_u32_e32 v74, v16, v5
	v_mov_b32_e32 v75, 0
	v_lshlrev_b64 v[74:75], 2, v[74:75]
	v_add_co_u32 v74, vcc_lo, v72, v74
	v_add_co_ci_u32_e64 v75, null, v73, v75, vcc_lo
	global_store_dword v[74:75], v19, off
	s_or_b32 exec_lo, exec_lo, s19
	s_and_saveexec_b32 s19, s4
	s_cbranch_execz .LBB104_180
.LBB104_247:
	v_sub_nc_u32_e32 v74, v15, v5
	v_mov_b32_e32 v75, 0
	v_lshlrev_b64 v[74:75], 2, v[74:75]
	v_add_co_u32 v74, vcc_lo, v72, v74
	v_add_co_ci_u32_e64 v75, null, v73, v75, vcc_lo
	global_store_dword v[74:75], v20, off
	s_or_b32 exec_lo, exec_lo, s19
	s_and_saveexec_b32 s19, s3
	s_cbranch_execz .LBB104_181
.LBB104_248:
	v_sub_nc_u32_e32 v74, v14, v5
	v_mov_b32_e32 v75, 0
	v_lshlrev_b64 v[74:75], 2, v[74:75]
	v_add_co_u32 v74, vcc_lo, v72, v74
	v_add_co_ci_u32_e64 v75, null, v73, v75, vcc_lo
	global_store_dword v[74:75], v17, off
	s_or_b32 exec_lo, exec_lo, s19
	s_and_saveexec_b32 s19, s2
	s_cbranch_execnz .LBB104_182
	s_branch .LBB104_183
.LBB104_249:
	v_sub_nc_u32_e32 v11, v4, v5
	v_lshlrev_b32_e32 v11, 2, v11
	ds_write_b32 v11, v29
	s_or_b32 exec_lo, exec_lo, s19
	s_and_saveexec_b32 s13, s12
	s_cbranch_execz .LBB104_187
.LBB104_250:
	v_sub_nc_u32_e32 v11, v65, v5
	v_lshlrev_b32_e32 v11, 2, v11
	ds_write_b32 v11, v30
	s_or_b32 exec_lo, exec_lo, s13
	s_and_saveexec_b32 s12, s10
	s_cbranch_execz .LBB104_188
.LBB104_251:
	v_sub_nc_u32_e32 v11, v71, v5
	v_lshlrev_b32_e32 v11, 2, v11
	ds_write_b32 v11, v27
	s_or_b32 exec_lo, exec_lo, s12
	s_and_saveexec_b32 s10, s9
	s_cbranch_execz .LBB104_189
.LBB104_252:
	v_sub_nc_u32_e32 v11, v70, v5
	v_lshlrev_b32_e32 v11, 2, v11
	ds_write_b32 v11, v28
	s_or_b32 exec_lo, exec_lo, s10
	s_and_saveexec_b32 s9, s15
	s_cbranch_execz .LBB104_190
.LBB104_253:
	v_sub_nc_u32_e32 v11, v36, v5
	v_lshlrev_b32_e32 v11, 2, v11
	ds_write_b32 v11, v25
	s_or_b32 exec_lo, exec_lo, s9
	s_and_saveexec_b32 s9, s14
	s_cbranch_execz .LBB104_191
.LBB104_254:
	v_sub_nc_u32_e32 v11, v35, v5
	v_lshlrev_b32_e32 v11, 2, v11
	ds_write_b32 v11, v26
	s_or_b32 exec_lo, exec_lo, s9
	s_and_saveexec_b32 s9, s11
	s_cbranch_execz .LBB104_192
.LBB104_255:
	v_sub_nc_u32_e32 v11, v34, v5
	v_lshlrev_b32_e32 v11, 2, v11
	ds_write_b32 v11, v23
	s_or_b32 exec_lo, exec_lo, s9
	s_and_saveexec_b32 s9, s8
	s_cbranch_execz .LBB104_193
.LBB104_256:
	v_sub_nc_u32_e32 v11, v33, v5
	v_lshlrev_b32_e32 v11, 2, v11
	ds_write_b32 v11, v24
	s_or_b32 exec_lo, exec_lo, s9
	s_and_saveexec_b32 s8, s7
	s_cbranch_execz .LBB104_194
.LBB104_257:
	v_sub_nc_u32_e32 v11, v32, v5
	v_lshlrev_b32_e32 v11, 2, v11
	ds_write_b32 v11, v21
	s_or_b32 exec_lo, exec_lo, s8
	s_and_saveexec_b32 s7, s6
	s_cbranch_execz .LBB104_195
.LBB104_258:
	v_sub_nc_u32_e32 v11, v31, v5
	v_lshlrev_b32_e32 v11, 2, v11
	ds_write_b32 v11, v22
	s_or_b32 exec_lo, exec_lo, s7
	s_and_saveexec_b32 s6, s5
	s_cbranch_execz .LBB104_196
.LBB104_259:
	v_sub_nc_u32_e32 v11, v16, v5
	v_lshlrev_b32_e32 v11, 2, v11
	ds_write_b32 v11, v19
	s_or_b32 exec_lo, exec_lo, s6
	s_and_saveexec_b32 s5, s4
	s_cbranch_execz .LBB104_197
.LBB104_260:
	v_sub_nc_u32_e32 v11, v15, v5
	v_lshlrev_b32_e32 v11, 2, v11
	ds_write_b32 v11, v20
	s_or_b32 exec_lo, exec_lo, s5
	s_and_saveexec_b32 s4, s3
	s_cbranch_execz .LBB104_198
.LBB104_261:
	v_sub_nc_u32_e32 v11, v14, v5
	v_lshlrev_b32_e32 v11, 2, v11
	ds_write_b32 v11, v17
	s_or_b32 exec_lo, exec_lo, s4
	s_and_saveexec_b32 s3, s2
	s_cbranch_execnz .LBB104_199
	s_branch .LBB104_200
.LBB104_262:
	v_sub_nc_u32_e32 v18, v4, v2
	v_mov_b32_e32 v19, 0
	v_lshlrev_b64 v[18:19], 2, v[18:19]
	v_add_co_u32 v18, vcc_lo, v12, v18
	v_add_co_ci_u32_e64 v19, null, v17, v19, vcc_lo
	global_store_dword v[18:19], v68, off
	s_or_b32 exec_lo, exec_lo, s18
	s_and_saveexec_b32 s18, s13
	s_cbranch_execz .LBB104_204
.LBB104_263:
	v_sub_nc_u32_e32 v18, v65, v2
	v_mov_b32_e32 v19, 0
	v_lshlrev_b64 v[18:19], 2, v[18:19]
	v_add_co_u32 v18, vcc_lo, v12, v18
	v_add_co_ci_u32_e64 v19, null, v17, v19, vcc_lo
	global_store_dword v[18:19], v66, off
	s_or_b32 exec_lo, exec_lo, s18
	s_and_saveexec_b32 s18, s12
	s_cbranch_execz .LBB104_205
.LBB104_264:
	v_sub_nc_u32_e32 v18, v71, v2
	v_mov_b32_e32 v19, 0
	v_lshlrev_b64 v[18:19], 2, v[18:19]
	v_add_co_u32 v18, vcc_lo, v12, v18
	v_add_co_ci_u32_e64 v19, null, v17, v19, vcc_lo
	global_store_dword v[18:19], v69, off
	s_or_b32 exec_lo, exec_lo, s18
	s_and_saveexec_b32 s18, s11
	s_cbranch_execz .LBB104_206
.LBB104_265:
	v_sub_nc_u32_e32 v18, v70, v2
	v_mov_b32_e32 v19, 0
	v_lshlrev_b64 v[18:19], 2, v[18:19]
	v_add_co_u32 v18, vcc_lo, v12, v18
	v_add_co_ci_u32_e64 v19, null, v17, v19, vcc_lo
	global_store_dword v[18:19], v67, off
	s_or_b32 exec_lo, exec_lo, s18
	s_and_saveexec_b32 s18, s10
	s_cbranch_execz .LBB104_207
.LBB104_266:
	v_sub_nc_u32_e32 v18, v36, v2
	v_mov_b32_e32 v19, 0
	v_lshlrev_b64 v[18:19], 2, v[18:19]
	v_add_co_u32 v18, vcc_lo, v12, v18
	v_add_co_ci_u32_e64 v19, null, v17, v19, vcc_lo
	global_store_dword v[18:19], v55, off
	s_or_b32 exec_lo, exec_lo, s18
	s_and_saveexec_b32 s18, s9
	s_cbranch_execz .LBB104_208
.LBB104_267:
	v_sub_nc_u32_e32 v18, v35, v2
	v_mov_b32_e32 v19, 0
	v_lshlrev_b64 v[18:19], 2, v[18:19]
	v_add_co_u32 v18, vcc_lo, v12, v18
	v_add_co_ci_u32_e64 v19, null, v17, v19, vcc_lo
	global_store_dword v[18:19], v53, off
	s_or_b32 exec_lo, exec_lo, s18
	s_and_saveexec_b32 s18, s8
	s_cbranch_execz .LBB104_209
.LBB104_268:
	v_sub_nc_u32_e32 v18, v34, v2
	v_mov_b32_e32 v19, 0
	v_lshlrev_b64 v[18:19], 2, v[18:19]
	v_add_co_u32 v18, vcc_lo, v12, v18
	v_add_co_ci_u32_e64 v19, null, v17, v19, vcc_lo
	global_store_dword v[18:19], v51, off
	s_or_b32 exec_lo, exec_lo, s18
	s_and_saveexec_b32 s18, s7
	s_cbranch_execz .LBB104_210
.LBB104_269:
	v_sub_nc_u32_e32 v18, v33, v2
	v_mov_b32_e32 v19, 0
	v_lshlrev_b64 v[18:19], 2, v[18:19]
	v_add_co_u32 v18, vcc_lo, v12, v18
	v_add_co_ci_u32_e64 v19, null, v17, v19, vcc_lo
	global_store_dword v[18:19], v49, off
	s_or_b32 exec_lo, exec_lo, s18
	s_and_saveexec_b32 s18, s6
	s_cbranch_execz .LBB104_211
.LBB104_270:
	v_sub_nc_u32_e32 v18, v32, v2
	v_mov_b32_e32 v19, 0
	v_lshlrev_b64 v[18:19], 2, v[18:19]
	v_add_co_u32 v18, vcc_lo, v12, v18
	v_add_co_ci_u32_e64 v19, null, v17, v19, vcc_lo
	global_store_dword v[18:19], v47, off
	s_or_b32 exec_lo, exec_lo, s18
	s_and_saveexec_b32 s18, s5
	s_cbranch_execz .LBB104_212
.LBB104_271:
	v_sub_nc_u32_e32 v18, v31, v2
	v_mov_b32_e32 v19, 0
	v_lshlrev_b64 v[18:19], 2, v[18:19]
	v_add_co_u32 v18, vcc_lo, v12, v18
	v_add_co_ci_u32_e64 v19, null, v17, v19, vcc_lo
	global_store_dword v[18:19], v45, off
	s_or_b32 exec_lo, exec_lo, s18
	s_and_saveexec_b32 s18, s4
	s_cbranch_execz .LBB104_213
.LBB104_272:
	v_sub_nc_u32_e32 v18, v16, v2
	v_mov_b32_e32 v19, 0
	v_lshlrev_b64 v[18:19], 2, v[18:19]
	v_add_co_u32 v18, vcc_lo, v12, v18
	v_add_co_ci_u32_e64 v19, null, v17, v19, vcc_lo
	global_store_dword v[18:19], v41, off
	s_or_b32 exec_lo, exec_lo, s18
	s_and_saveexec_b32 s18, s3
	s_cbranch_execz .LBB104_214
.LBB104_273:
	v_sub_nc_u32_e32 v18, v15, v2
	v_mov_b32_e32 v19, 0
	v_lshlrev_b64 v[18:19], 2, v[18:19]
	v_add_co_u32 v18, vcc_lo, v12, v18
	v_add_co_ci_u32_e64 v19, null, v17, v19, vcc_lo
	global_store_dword v[18:19], v39, off
	s_or_b32 exec_lo, exec_lo, s18
	s_and_saveexec_b32 s18, s2
	s_cbranch_execz .LBB104_215
.LBB104_274:
	v_sub_nc_u32_e32 v18, v14, v2
	v_mov_b32_e32 v19, 0
	v_lshlrev_b64 v[18:19], 2, v[18:19]
	v_add_co_u32 v18, vcc_lo, v12, v18
	v_add_co_ci_u32_e64 v19, null, v17, v19, vcc_lo
	global_store_dword v[18:19], v40, off
	s_or_b32 exec_lo, exec_lo, s18
	s_and_saveexec_b32 s18, s1
	s_cbranch_execnz .LBB104_216
	s_branch .LBB104_217
.LBB104_275:
	v_sub_nc_u32_e32 v3, v4, v2
	v_lshlrev_b32_e32 v3, 2, v3
	ds_write_b32 v3, v68
	s_or_b32 exec_lo, exec_lo, s18
	s_and_saveexec_b32 s14, s13
	s_cbranch_execz .LBB104_221
.LBB104_276:
	v_sub_nc_u32_e32 v3, v65, v2
	v_lshlrev_b32_e32 v3, 2, v3
	ds_write_b32 v3, v66
	s_or_b32 exec_lo, exec_lo, s14
	s_and_saveexec_b32 s13, s12
	s_cbranch_execz .LBB104_222
.LBB104_277:
	v_sub_nc_u32_e32 v3, v71, v2
	v_lshlrev_b32_e32 v3, 2, v3
	ds_write_b32 v3, v69
	s_or_b32 exec_lo, exec_lo, s13
	s_and_saveexec_b32 s12, s11
	s_cbranch_execz .LBB104_223
.LBB104_278:
	v_sub_nc_u32_e32 v3, v70, v2
	v_lshlrev_b32_e32 v3, 2, v3
	ds_write_b32 v3, v67
	s_or_b32 exec_lo, exec_lo, s12
	s_and_saveexec_b32 s11, s10
	s_cbranch_execz .LBB104_224
.LBB104_279:
	v_sub_nc_u32_e32 v3, v36, v2
	v_lshlrev_b32_e32 v3, 2, v3
	ds_write_b32 v3, v55
	s_or_b32 exec_lo, exec_lo, s11
	s_and_saveexec_b32 s10, s9
	s_cbranch_execz .LBB104_225
.LBB104_280:
	v_sub_nc_u32_e32 v3, v35, v2
	v_lshlrev_b32_e32 v3, 2, v3
	ds_write_b32 v3, v53
	s_or_b32 exec_lo, exec_lo, s10
	s_and_saveexec_b32 s9, s8
	s_cbranch_execz .LBB104_226
.LBB104_281:
	v_sub_nc_u32_e32 v3, v34, v2
	v_lshlrev_b32_e32 v3, 2, v3
	ds_write_b32 v3, v51
	s_or_b32 exec_lo, exec_lo, s9
	s_and_saveexec_b32 s8, s7
	s_cbranch_execz .LBB104_227
.LBB104_282:
	v_sub_nc_u32_e32 v3, v33, v2
	v_lshlrev_b32_e32 v3, 2, v3
	ds_write_b32 v3, v49
	s_or_b32 exec_lo, exec_lo, s8
	s_and_saveexec_b32 s7, s6
	s_cbranch_execz .LBB104_228
.LBB104_283:
	v_sub_nc_u32_e32 v3, v32, v2
	v_lshlrev_b32_e32 v3, 2, v3
	ds_write_b32 v3, v47
	s_or_b32 exec_lo, exec_lo, s7
	s_and_saveexec_b32 s6, s5
	s_cbranch_execz .LBB104_229
.LBB104_284:
	v_sub_nc_u32_e32 v3, v31, v2
	v_lshlrev_b32_e32 v3, 2, v3
	ds_write_b32 v3, v45
	s_or_b32 exec_lo, exec_lo, s6
	s_and_saveexec_b32 s5, s4
	s_cbranch_execz .LBB104_230
.LBB104_285:
	v_sub_nc_u32_e32 v3, v16, v2
	v_lshlrev_b32_e32 v3, 2, v3
	ds_write_b32 v3, v41
	s_or_b32 exec_lo, exec_lo, s5
	s_and_saveexec_b32 s4, s3
	s_cbranch_execz .LBB104_231
.LBB104_286:
	v_sub_nc_u32_e32 v3, v15, v2
	v_lshlrev_b32_e32 v3, 2, v3
	ds_write_b32 v3, v39
	s_or_b32 exec_lo, exec_lo, s4
	s_and_saveexec_b32 s3, s2
	s_cbranch_execz .LBB104_232
.LBB104_287:
	v_sub_nc_u32_e32 v3, v14, v2
	v_lshlrev_b32_e32 v3, 2, v3
	ds_write_b32 v3, v40
	s_or_b32 exec_lo, exec_lo, s3
	s_and_saveexec_b32 s2, s1
	s_cbranch_execnz .LBB104_233
	s_branch .LBB104_234
	.section	.rodata,"a",@progbits
	.p2align	6, 0x0
	.amdhsa_kernel _ZN7rocprim17ROCPRIM_400000_NS6detail17trampoline_kernelINS0_14default_configENS1_29reduce_by_key_config_selectorIifN6thrust23THRUST_200600_302600_NS4plusIfEEEEZZNS1_33reduce_by_key_impl_wrapped_configILNS1_25lookback_scan_determinismE0ES3_S9_NS6_6detail15normal_iteratorINS6_10device_ptrIiEEEENSD_INSE_IfEEEESG_SI_PmS8_NS6_8equal_toIiEEEE10hipError_tPvRmT2_T3_mT4_T5_T6_T7_T8_P12ihipStream_tbENKUlT_T0_E_clISt17integral_constantIbLb0EES12_IbLb1EEEEDaSY_SZ_EUlSY_E_NS1_11comp_targetILNS1_3genE8ELNS1_11target_archE1030ELNS1_3gpuE2ELNS1_3repE0EEENS1_30default_config_static_selectorELNS0_4arch9wavefront6targetE0EEEvT1_
		.amdhsa_group_segment_fixed_size 15360
		.amdhsa_private_segment_fixed_size 0
		.amdhsa_kernarg_size 120
		.amdhsa_user_sgpr_count 6
		.amdhsa_user_sgpr_private_segment_buffer 1
		.amdhsa_user_sgpr_dispatch_ptr 0
		.amdhsa_user_sgpr_queue_ptr 0
		.amdhsa_user_sgpr_kernarg_segment_ptr 1
		.amdhsa_user_sgpr_dispatch_id 0
		.amdhsa_user_sgpr_flat_scratch_init 0
		.amdhsa_user_sgpr_private_segment_size 0
		.amdhsa_wavefront_size32 1
		.amdhsa_uses_dynamic_stack 0
		.amdhsa_system_sgpr_private_segment_wavefront_offset 0
		.amdhsa_system_sgpr_workgroup_id_x 1
		.amdhsa_system_sgpr_workgroup_id_y 0
		.amdhsa_system_sgpr_workgroup_id_z 0
		.amdhsa_system_sgpr_workgroup_info 0
		.amdhsa_system_vgpr_workitem_id 0
		.amdhsa_next_free_vgpr 86
		.amdhsa_next_free_sgpr 44
		.amdhsa_reserve_vcc 1
		.amdhsa_reserve_flat_scratch 1
		.amdhsa_float_round_mode_32 0
		.amdhsa_float_round_mode_16_64 0
		.amdhsa_float_denorm_mode_32 3
		.amdhsa_float_denorm_mode_16_64 3
		.amdhsa_dx10_clamp 1
		.amdhsa_ieee_mode 1
		.amdhsa_fp16_overflow 0
		.amdhsa_workgroup_processor_mode 1
		.amdhsa_memory_ordered 1
		.amdhsa_forward_progress 1
		.amdhsa_shared_vgpr_count 0
		.amdhsa_exception_fp_ieee_invalid_op 0
		.amdhsa_exception_fp_denorm_src 0
		.amdhsa_exception_fp_ieee_div_zero 0
		.amdhsa_exception_fp_ieee_overflow 0
		.amdhsa_exception_fp_ieee_underflow 0
		.amdhsa_exception_fp_ieee_inexact 0
		.amdhsa_exception_int_div_zero 0
	.end_amdhsa_kernel
	.section	.text._ZN7rocprim17ROCPRIM_400000_NS6detail17trampoline_kernelINS0_14default_configENS1_29reduce_by_key_config_selectorIifN6thrust23THRUST_200600_302600_NS4plusIfEEEEZZNS1_33reduce_by_key_impl_wrapped_configILNS1_25lookback_scan_determinismE0ES3_S9_NS6_6detail15normal_iteratorINS6_10device_ptrIiEEEENSD_INSE_IfEEEESG_SI_PmS8_NS6_8equal_toIiEEEE10hipError_tPvRmT2_T3_mT4_T5_T6_T7_T8_P12ihipStream_tbENKUlT_T0_E_clISt17integral_constantIbLb0EES12_IbLb1EEEEDaSY_SZ_EUlSY_E_NS1_11comp_targetILNS1_3genE8ELNS1_11target_archE1030ELNS1_3gpuE2ELNS1_3repE0EEENS1_30default_config_static_selectorELNS0_4arch9wavefront6targetE0EEEvT1_,"axG",@progbits,_ZN7rocprim17ROCPRIM_400000_NS6detail17trampoline_kernelINS0_14default_configENS1_29reduce_by_key_config_selectorIifN6thrust23THRUST_200600_302600_NS4plusIfEEEEZZNS1_33reduce_by_key_impl_wrapped_configILNS1_25lookback_scan_determinismE0ES3_S9_NS6_6detail15normal_iteratorINS6_10device_ptrIiEEEENSD_INSE_IfEEEESG_SI_PmS8_NS6_8equal_toIiEEEE10hipError_tPvRmT2_T3_mT4_T5_T6_T7_T8_P12ihipStream_tbENKUlT_T0_E_clISt17integral_constantIbLb0EES12_IbLb1EEEEDaSY_SZ_EUlSY_E_NS1_11comp_targetILNS1_3genE8ELNS1_11target_archE1030ELNS1_3gpuE2ELNS1_3repE0EEENS1_30default_config_static_selectorELNS0_4arch9wavefront6targetE0EEEvT1_,comdat
.Lfunc_end104:
	.size	_ZN7rocprim17ROCPRIM_400000_NS6detail17trampoline_kernelINS0_14default_configENS1_29reduce_by_key_config_selectorIifN6thrust23THRUST_200600_302600_NS4plusIfEEEEZZNS1_33reduce_by_key_impl_wrapped_configILNS1_25lookback_scan_determinismE0ES3_S9_NS6_6detail15normal_iteratorINS6_10device_ptrIiEEEENSD_INSE_IfEEEESG_SI_PmS8_NS6_8equal_toIiEEEE10hipError_tPvRmT2_T3_mT4_T5_T6_T7_T8_P12ihipStream_tbENKUlT_T0_E_clISt17integral_constantIbLb0EES12_IbLb1EEEEDaSY_SZ_EUlSY_E_NS1_11comp_targetILNS1_3genE8ELNS1_11target_archE1030ELNS1_3gpuE2ELNS1_3repE0EEENS1_30default_config_static_selectorELNS0_4arch9wavefront6targetE0EEEvT1_, .Lfunc_end104-_ZN7rocprim17ROCPRIM_400000_NS6detail17trampoline_kernelINS0_14default_configENS1_29reduce_by_key_config_selectorIifN6thrust23THRUST_200600_302600_NS4plusIfEEEEZZNS1_33reduce_by_key_impl_wrapped_configILNS1_25lookback_scan_determinismE0ES3_S9_NS6_6detail15normal_iteratorINS6_10device_ptrIiEEEENSD_INSE_IfEEEESG_SI_PmS8_NS6_8equal_toIiEEEE10hipError_tPvRmT2_T3_mT4_T5_T6_T7_T8_P12ihipStream_tbENKUlT_T0_E_clISt17integral_constantIbLb0EES12_IbLb1EEEEDaSY_SZ_EUlSY_E_NS1_11comp_targetILNS1_3genE8ELNS1_11target_archE1030ELNS1_3gpuE2ELNS1_3repE0EEENS1_30default_config_static_selectorELNS0_4arch9wavefront6targetE0EEEvT1_
                                        ; -- End function
	.set _ZN7rocprim17ROCPRIM_400000_NS6detail17trampoline_kernelINS0_14default_configENS1_29reduce_by_key_config_selectorIifN6thrust23THRUST_200600_302600_NS4plusIfEEEEZZNS1_33reduce_by_key_impl_wrapped_configILNS1_25lookback_scan_determinismE0ES3_S9_NS6_6detail15normal_iteratorINS6_10device_ptrIiEEEENSD_INSE_IfEEEESG_SI_PmS8_NS6_8equal_toIiEEEE10hipError_tPvRmT2_T3_mT4_T5_T6_T7_T8_P12ihipStream_tbENKUlT_T0_E_clISt17integral_constantIbLb0EES12_IbLb1EEEEDaSY_SZ_EUlSY_E_NS1_11comp_targetILNS1_3genE8ELNS1_11target_archE1030ELNS1_3gpuE2ELNS1_3repE0EEENS1_30default_config_static_selectorELNS0_4arch9wavefront6targetE0EEEvT1_.num_vgpr, 86
	.set _ZN7rocprim17ROCPRIM_400000_NS6detail17trampoline_kernelINS0_14default_configENS1_29reduce_by_key_config_selectorIifN6thrust23THRUST_200600_302600_NS4plusIfEEEEZZNS1_33reduce_by_key_impl_wrapped_configILNS1_25lookback_scan_determinismE0ES3_S9_NS6_6detail15normal_iteratorINS6_10device_ptrIiEEEENSD_INSE_IfEEEESG_SI_PmS8_NS6_8equal_toIiEEEE10hipError_tPvRmT2_T3_mT4_T5_T6_T7_T8_P12ihipStream_tbENKUlT_T0_E_clISt17integral_constantIbLb0EES12_IbLb1EEEEDaSY_SZ_EUlSY_E_NS1_11comp_targetILNS1_3genE8ELNS1_11target_archE1030ELNS1_3gpuE2ELNS1_3repE0EEENS1_30default_config_static_selectorELNS0_4arch9wavefront6targetE0EEEvT1_.num_agpr, 0
	.set _ZN7rocprim17ROCPRIM_400000_NS6detail17trampoline_kernelINS0_14default_configENS1_29reduce_by_key_config_selectorIifN6thrust23THRUST_200600_302600_NS4plusIfEEEEZZNS1_33reduce_by_key_impl_wrapped_configILNS1_25lookback_scan_determinismE0ES3_S9_NS6_6detail15normal_iteratorINS6_10device_ptrIiEEEENSD_INSE_IfEEEESG_SI_PmS8_NS6_8equal_toIiEEEE10hipError_tPvRmT2_T3_mT4_T5_T6_T7_T8_P12ihipStream_tbENKUlT_T0_E_clISt17integral_constantIbLb0EES12_IbLb1EEEEDaSY_SZ_EUlSY_E_NS1_11comp_targetILNS1_3genE8ELNS1_11target_archE1030ELNS1_3gpuE2ELNS1_3repE0EEENS1_30default_config_static_selectorELNS0_4arch9wavefront6targetE0EEEvT1_.numbered_sgpr, 44
	.set _ZN7rocprim17ROCPRIM_400000_NS6detail17trampoline_kernelINS0_14default_configENS1_29reduce_by_key_config_selectorIifN6thrust23THRUST_200600_302600_NS4plusIfEEEEZZNS1_33reduce_by_key_impl_wrapped_configILNS1_25lookback_scan_determinismE0ES3_S9_NS6_6detail15normal_iteratorINS6_10device_ptrIiEEEENSD_INSE_IfEEEESG_SI_PmS8_NS6_8equal_toIiEEEE10hipError_tPvRmT2_T3_mT4_T5_T6_T7_T8_P12ihipStream_tbENKUlT_T0_E_clISt17integral_constantIbLb0EES12_IbLb1EEEEDaSY_SZ_EUlSY_E_NS1_11comp_targetILNS1_3genE8ELNS1_11target_archE1030ELNS1_3gpuE2ELNS1_3repE0EEENS1_30default_config_static_selectorELNS0_4arch9wavefront6targetE0EEEvT1_.num_named_barrier, 0
	.set _ZN7rocprim17ROCPRIM_400000_NS6detail17trampoline_kernelINS0_14default_configENS1_29reduce_by_key_config_selectorIifN6thrust23THRUST_200600_302600_NS4plusIfEEEEZZNS1_33reduce_by_key_impl_wrapped_configILNS1_25lookback_scan_determinismE0ES3_S9_NS6_6detail15normal_iteratorINS6_10device_ptrIiEEEENSD_INSE_IfEEEESG_SI_PmS8_NS6_8equal_toIiEEEE10hipError_tPvRmT2_T3_mT4_T5_T6_T7_T8_P12ihipStream_tbENKUlT_T0_E_clISt17integral_constantIbLb0EES12_IbLb1EEEEDaSY_SZ_EUlSY_E_NS1_11comp_targetILNS1_3genE8ELNS1_11target_archE1030ELNS1_3gpuE2ELNS1_3repE0EEENS1_30default_config_static_selectorELNS0_4arch9wavefront6targetE0EEEvT1_.private_seg_size, 0
	.set _ZN7rocprim17ROCPRIM_400000_NS6detail17trampoline_kernelINS0_14default_configENS1_29reduce_by_key_config_selectorIifN6thrust23THRUST_200600_302600_NS4plusIfEEEEZZNS1_33reduce_by_key_impl_wrapped_configILNS1_25lookback_scan_determinismE0ES3_S9_NS6_6detail15normal_iteratorINS6_10device_ptrIiEEEENSD_INSE_IfEEEESG_SI_PmS8_NS6_8equal_toIiEEEE10hipError_tPvRmT2_T3_mT4_T5_T6_T7_T8_P12ihipStream_tbENKUlT_T0_E_clISt17integral_constantIbLb0EES12_IbLb1EEEEDaSY_SZ_EUlSY_E_NS1_11comp_targetILNS1_3genE8ELNS1_11target_archE1030ELNS1_3gpuE2ELNS1_3repE0EEENS1_30default_config_static_selectorELNS0_4arch9wavefront6targetE0EEEvT1_.uses_vcc, 1
	.set _ZN7rocprim17ROCPRIM_400000_NS6detail17trampoline_kernelINS0_14default_configENS1_29reduce_by_key_config_selectorIifN6thrust23THRUST_200600_302600_NS4plusIfEEEEZZNS1_33reduce_by_key_impl_wrapped_configILNS1_25lookback_scan_determinismE0ES3_S9_NS6_6detail15normal_iteratorINS6_10device_ptrIiEEEENSD_INSE_IfEEEESG_SI_PmS8_NS6_8equal_toIiEEEE10hipError_tPvRmT2_T3_mT4_T5_T6_T7_T8_P12ihipStream_tbENKUlT_T0_E_clISt17integral_constantIbLb0EES12_IbLb1EEEEDaSY_SZ_EUlSY_E_NS1_11comp_targetILNS1_3genE8ELNS1_11target_archE1030ELNS1_3gpuE2ELNS1_3repE0EEENS1_30default_config_static_selectorELNS0_4arch9wavefront6targetE0EEEvT1_.uses_flat_scratch, 1
	.set _ZN7rocprim17ROCPRIM_400000_NS6detail17trampoline_kernelINS0_14default_configENS1_29reduce_by_key_config_selectorIifN6thrust23THRUST_200600_302600_NS4plusIfEEEEZZNS1_33reduce_by_key_impl_wrapped_configILNS1_25lookback_scan_determinismE0ES3_S9_NS6_6detail15normal_iteratorINS6_10device_ptrIiEEEENSD_INSE_IfEEEESG_SI_PmS8_NS6_8equal_toIiEEEE10hipError_tPvRmT2_T3_mT4_T5_T6_T7_T8_P12ihipStream_tbENKUlT_T0_E_clISt17integral_constantIbLb0EES12_IbLb1EEEEDaSY_SZ_EUlSY_E_NS1_11comp_targetILNS1_3genE8ELNS1_11target_archE1030ELNS1_3gpuE2ELNS1_3repE0EEENS1_30default_config_static_selectorELNS0_4arch9wavefront6targetE0EEEvT1_.has_dyn_sized_stack, 0
	.set _ZN7rocprim17ROCPRIM_400000_NS6detail17trampoline_kernelINS0_14default_configENS1_29reduce_by_key_config_selectorIifN6thrust23THRUST_200600_302600_NS4plusIfEEEEZZNS1_33reduce_by_key_impl_wrapped_configILNS1_25lookback_scan_determinismE0ES3_S9_NS6_6detail15normal_iteratorINS6_10device_ptrIiEEEENSD_INSE_IfEEEESG_SI_PmS8_NS6_8equal_toIiEEEE10hipError_tPvRmT2_T3_mT4_T5_T6_T7_T8_P12ihipStream_tbENKUlT_T0_E_clISt17integral_constantIbLb0EES12_IbLb1EEEEDaSY_SZ_EUlSY_E_NS1_11comp_targetILNS1_3genE8ELNS1_11target_archE1030ELNS1_3gpuE2ELNS1_3repE0EEENS1_30default_config_static_selectorELNS0_4arch9wavefront6targetE0EEEvT1_.has_recursion, 0
	.set _ZN7rocprim17ROCPRIM_400000_NS6detail17trampoline_kernelINS0_14default_configENS1_29reduce_by_key_config_selectorIifN6thrust23THRUST_200600_302600_NS4plusIfEEEEZZNS1_33reduce_by_key_impl_wrapped_configILNS1_25lookback_scan_determinismE0ES3_S9_NS6_6detail15normal_iteratorINS6_10device_ptrIiEEEENSD_INSE_IfEEEESG_SI_PmS8_NS6_8equal_toIiEEEE10hipError_tPvRmT2_T3_mT4_T5_T6_T7_T8_P12ihipStream_tbENKUlT_T0_E_clISt17integral_constantIbLb0EES12_IbLb1EEEEDaSY_SZ_EUlSY_E_NS1_11comp_targetILNS1_3genE8ELNS1_11target_archE1030ELNS1_3gpuE2ELNS1_3repE0EEENS1_30default_config_static_selectorELNS0_4arch9wavefront6targetE0EEEvT1_.has_indirect_call, 0
	.section	.AMDGPU.csdata,"",@progbits
; Kernel info:
; codeLenInByte = 16172
; TotalNumSgprs: 46
; NumVgprs: 86
; ScratchSize: 0
; MemoryBound: 0
; FloatMode: 240
; IeeeMode: 1
; LDSByteSize: 15360 bytes/workgroup (compile time only)
; SGPRBlocks: 0
; VGPRBlocks: 10
; NumSGPRsForWavesPerEU: 46
; NumVGPRsForWavesPerEU: 86
; Occupancy: 10
; WaveLimiterHint : 1
; COMPUTE_PGM_RSRC2:SCRATCH_EN: 0
; COMPUTE_PGM_RSRC2:USER_SGPR: 6
; COMPUTE_PGM_RSRC2:TRAP_HANDLER: 0
; COMPUTE_PGM_RSRC2:TGID_X_EN: 1
; COMPUTE_PGM_RSRC2:TGID_Y_EN: 0
; COMPUTE_PGM_RSRC2:TGID_Z_EN: 0
; COMPUTE_PGM_RSRC2:TIDIG_COMP_CNT: 0
	.section	.AMDGPU.gpr_maximums,"",@progbits
	.set amdgpu.max_num_vgpr, 0
	.set amdgpu.max_num_agpr, 0
	.set amdgpu.max_num_sgpr, 0
	.section	.AMDGPU.csdata,"",@progbits
	.type	__hip_cuid_e965021733d2c3a6,@object ; @__hip_cuid_e965021733d2c3a6
	.section	.bss,"aw",@nobits
	.globl	__hip_cuid_e965021733d2c3a6
__hip_cuid_e965021733d2c3a6:
	.byte	0                               ; 0x0
	.size	__hip_cuid_e965021733d2c3a6, 1

	.ident	"AMD clang version 22.0.0git (https://github.com/RadeonOpenCompute/llvm-project roc-7.2.4 26084 f58b06dce1f9c15707c5f808fd002e18c2accf7e)"
	.section	".note.GNU-stack","",@progbits
	.addrsig
	.addrsig_sym __hip_cuid_e965021733d2c3a6
	.amdgpu_metadata
---
amdhsa.kernels:
  - .args:
      - .offset:         0
        .size:           16
        .value_kind:     by_value
      - .offset:         16
        .size:           8
        .value_kind:     by_value
      - .offset:         24
        .size:           8
        .value_kind:     by_value
    .group_segment_fixed_size: 0
    .kernarg_segment_align: 8
    .kernarg_segment_size: 32
    .language:       OpenCL C
    .language_version:
      - 2
      - 0
    .max_flat_workgroup_size: 256
    .name:           _ZN6thrust23THRUST_200600_302600_NS11hip_rocprim14__parallel_for6kernelILj256ENS1_20__uninitialized_fill7functorINS0_10device_ptrIiEEiEEmLj1EEEvT0_T1_SA_
    .private_segment_fixed_size: 0
    .sgpr_count:     14
    .sgpr_spill_count: 0
    .symbol:         _ZN6thrust23THRUST_200600_302600_NS11hip_rocprim14__parallel_for6kernelILj256ENS1_20__uninitialized_fill7functorINS0_10device_ptrIiEEiEEmLj1EEEvT0_T1_SA_.kd
    .uniform_work_group_size: 1
    .uses_dynamic_stack: false
    .vgpr_count:     4
    .vgpr_spill_count: 0
    .wavefront_size: 32
    .workgroup_processor_mode: 1
  - .args:
      - .offset:         0
        .size:           16
        .value_kind:     by_value
      - .offset:         16
        .size:           8
        .value_kind:     by_value
      - .offset:         24
        .size:           8
        .value_kind:     by_value
    .group_segment_fixed_size: 0
    .kernarg_segment_align: 8
    .kernarg_segment_size: 32
    .language:       OpenCL C
    .language_version:
      - 2
      - 0
    .max_flat_workgroup_size: 256
    .name:           _ZN6thrust23THRUST_200600_302600_NS11hip_rocprim14__parallel_for6kernelILj256ENS1_20__uninitialized_fill7functorINS0_10device_ptrIfEEfEEmLj1EEEvT0_T1_SA_
    .private_segment_fixed_size: 0
    .sgpr_count:     14
    .sgpr_spill_count: 0
    .symbol:         _ZN6thrust23THRUST_200600_302600_NS11hip_rocprim14__parallel_for6kernelILj256ENS1_20__uninitialized_fill7functorINS0_10device_ptrIfEEfEEmLj1EEEvT0_T1_SA_.kd
    .uniform_work_group_size: 1
    .uses_dynamic_stack: false
    .vgpr_count:     4
    .vgpr_spill_count: 0
    .wavefront_size: 32
    .workgroup_processor_mode: 1
  - .args:
      - .offset:         0
        .size:           64
        .value_kind:     by_value
    .group_segment_fixed_size: 0
    .kernarg_segment_align: 8
    .kernarg_segment_size: 64
    .language:       OpenCL C
    .language_version:
      - 2
      - 0
    .max_flat_workgroup_size: 256
    .name:           _ZN7rocprim17ROCPRIM_400000_NS6detail17trampoline_kernelINS0_14default_configENS1_21merge_config_selectorINS0_5tupleIJifEEENS0_10empty_typeEEEZNS1_10merge_implIS3_NS0_12zip_iteratorINS5_IJN6thrust23THRUST_200600_302600_NS6detail15normal_iteratorINSC_10device_ptrIKiEEEENSE_INSF_IKfEEEEEEEEESN_NSA_INS5_IJNSE_INSF_IiEEEENSE_INSF_IfEEEEEEEEEPS7_SU_SU_NSC_11hip_rocprim7__merge17predicate_wrapperIifNSC_4lessIiEEEEEE10hipError_tPvRmT0_T1_T2_T3_T4_T5_mmT6_P12ihipStream_tbEUlT_E_NS1_11comp_targetILNS1_3genE0ELNS1_11target_archE4294967295ELNS1_3gpuE0ELNS1_3repE0EEENS1_30default_config_static_selectorELNS0_4arch9wavefront6targetE0EEEvS15_
    .private_segment_fixed_size: 0
    .sgpr_count:     0
    .sgpr_spill_count: 0
    .symbol:         _ZN7rocprim17ROCPRIM_400000_NS6detail17trampoline_kernelINS0_14default_configENS1_21merge_config_selectorINS0_5tupleIJifEEENS0_10empty_typeEEEZNS1_10merge_implIS3_NS0_12zip_iteratorINS5_IJN6thrust23THRUST_200600_302600_NS6detail15normal_iteratorINSC_10device_ptrIKiEEEENSE_INSF_IKfEEEEEEEEESN_NSA_INS5_IJNSE_INSF_IiEEEENSE_INSF_IfEEEEEEEEEPS7_SU_SU_NSC_11hip_rocprim7__merge17predicate_wrapperIifNSC_4lessIiEEEEEE10hipError_tPvRmT0_T1_T2_T3_T4_T5_mmT6_P12ihipStream_tbEUlT_E_NS1_11comp_targetILNS1_3genE0ELNS1_11target_archE4294967295ELNS1_3gpuE0ELNS1_3repE0EEENS1_30default_config_static_selectorELNS0_4arch9wavefront6targetE0EEEvS15_.kd
    .uniform_work_group_size: 1
    .uses_dynamic_stack: false
    .vgpr_count:     0
    .vgpr_spill_count: 0
    .wavefront_size: 32
    .workgroup_processor_mode: 1
  - .args:
      - .offset:         0
        .size:           64
        .value_kind:     by_value
    .group_segment_fixed_size: 0
    .kernarg_segment_align: 8
    .kernarg_segment_size: 64
    .language:       OpenCL C
    .language_version:
      - 2
      - 0
    .max_flat_workgroup_size: 256
    .name:           _ZN7rocprim17ROCPRIM_400000_NS6detail17trampoline_kernelINS0_14default_configENS1_21merge_config_selectorINS0_5tupleIJifEEENS0_10empty_typeEEEZNS1_10merge_implIS3_NS0_12zip_iteratorINS5_IJN6thrust23THRUST_200600_302600_NS6detail15normal_iteratorINSC_10device_ptrIKiEEEENSE_INSF_IKfEEEEEEEEESN_NSA_INS5_IJNSE_INSF_IiEEEENSE_INSF_IfEEEEEEEEEPS7_SU_SU_NSC_11hip_rocprim7__merge17predicate_wrapperIifNSC_4lessIiEEEEEE10hipError_tPvRmT0_T1_T2_T3_T4_T5_mmT6_P12ihipStream_tbEUlT_E_NS1_11comp_targetILNS1_3genE5ELNS1_11target_archE942ELNS1_3gpuE9ELNS1_3repE0EEENS1_30default_config_static_selectorELNS0_4arch9wavefront6targetE0EEEvS15_
    .private_segment_fixed_size: 0
    .sgpr_count:     0
    .sgpr_spill_count: 0
    .symbol:         _ZN7rocprim17ROCPRIM_400000_NS6detail17trampoline_kernelINS0_14default_configENS1_21merge_config_selectorINS0_5tupleIJifEEENS0_10empty_typeEEEZNS1_10merge_implIS3_NS0_12zip_iteratorINS5_IJN6thrust23THRUST_200600_302600_NS6detail15normal_iteratorINSC_10device_ptrIKiEEEENSE_INSF_IKfEEEEEEEEESN_NSA_INS5_IJNSE_INSF_IiEEEENSE_INSF_IfEEEEEEEEEPS7_SU_SU_NSC_11hip_rocprim7__merge17predicate_wrapperIifNSC_4lessIiEEEEEE10hipError_tPvRmT0_T1_T2_T3_T4_T5_mmT6_P12ihipStream_tbEUlT_E_NS1_11comp_targetILNS1_3genE5ELNS1_11target_archE942ELNS1_3gpuE9ELNS1_3repE0EEENS1_30default_config_static_selectorELNS0_4arch9wavefront6targetE0EEEvS15_.kd
    .uniform_work_group_size: 1
    .uses_dynamic_stack: false
    .vgpr_count:     0
    .vgpr_spill_count: 0
    .wavefront_size: 32
    .workgroup_processor_mode: 1
  - .args:
      - .offset:         0
        .size:           64
        .value_kind:     by_value
    .group_segment_fixed_size: 0
    .kernarg_segment_align: 8
    .kernarg_segment_size: 64
    .language:       OpenCL C
    .language_version:
      - 2
      - 0
    .max_flat_workgroup_size: 256
    .name:           _ZN7rocprim17ROCPRIM_400000_NS6detail17trampoline_kernelINS0_14default_configENS1_21merge_config_selectorINS0_5tupleIJifEEENS0_10empty_typeEEEZNS1_10merge_implIS3_NS0_12zip_iteratorINS5_IJN6thrust23THRUST_200600_302600_NS6detail15normal_iteratorINSC_10device_ptrIKiEEEENSE_INSF_IKfEEEEEEEEESN_NSA_INS5_IJNSE_INSF_IiEEEENSE_INSF_IfEEEEEEEEEPS7_SU_SU_NSC_11hip_rocprim7__merge17predicate_wrapperIifNSC_4lessIiEEEEEE10hipError_tPvRmT0_T1_T2_T3_T4_T5_mmT6_P12ihipStream_tbEUlT_E_NS1_11comp_targetILNS1_3genE4ELNS1_11target_archE910ELNS1_3gpuE8ELNS1_3repE0EEENS1_30default_config_static_selectorELNS0_4arch9wavefront6targetE0EEEvS15_
    .private_segment_fixed_size: 0
    .sgpr_count:     0
    .sgpr_spill_count: 0
    .symbol:         _ZN7rocprim17ROCPRIM_400000_NS6detail17trampoline_kernelINS0_14default_configENS1_21merge_config_selectorINS0_5tupleIJifEEENS0_10empty_typeEEEZNS1_10merge_implIS3_NS0_12zip_iteratorINS5_IJN6thrust23THRUST_200600_302600_NS6detail15normal_iteratorINSC_10device_ptrIKiEEEENSE_INSF_IKfEEEEEEEEESN_NSA_INS5_IJNSE_INSF_IiEEEENSE_INSF_IfEEEEEEEEEPS7_SU_SU_NSC_11hip_rocprim7__merge17predicate_wrapperIifNSC_4lessIiEEEEEE10hipError_tPvRmT0_T1_T2_T3_T4_T5_mmT6_P12ihipStream_tbEUlT_E_NS1_11comp_targetILNS1_3genE4ELNS1_11target_archE910ELNS1_3gpuE8ELNS1_3repE0EEENS1_30default_config_static_selectorELNS0_4arch9wavefront6targetE0EEEvS15_.kd
    .uniform_work_group_size: 1
    .uses_dynamic_stack: false
    .vgpr_count:     0
    .vgpr_spill_count: 0
    .wavefront_size: 32
    .workgroup_processor_mode: 1
  - .args:
      - .offset:         0
        .size:           64
        .value_kind:     by_value
    .group_segment_fixed_size: 0
    .kernarg_segment_align: 8
    .kernarg_segment_size: 64
    .language:       OpenCL C
    .language_version:
      - 2
      - 0
    .max_flat_workgroup_size: 256
    .name:           _ZN7rocprim17ROCPRIM_400000_NS6detail17trampoline_kernelINS0_14default_configENS1_21merge_config_selectorINS0_5tupleIJifEEENS0_10empty_typeEEEZNS1_10merge_implIS3_NS0_12zip_iteratorINS5_IJN6thrust23THRUST_200600_302600_NS6detail15normal_iteratorINSC_10device_ptrIKiEEEENSE_INSF_IKfEEEEEEEEESN_NSA_INS5_IJNSE_INSF_IiEEEENSE_INSF_IfEEEEEEEEEPS7_SU_SU_NSC_11hip_rocprim7__merge17predicate_wrapperIifNSC_4lessIiEEEEEE10hipError_tPvRmT0_T1_T2_T3_T4_T5_mmT6_P12ihipStream_tbEUlT_E_NS1_11comp_targetILNS1_3genE3ELNS1_11target_archE908ELNS1_3gpuE7ELNS1_3repE0EEENS1_30default_config_static_selectorELNS0_4arch9wavefront6targetE0EEEvS15_
    .private_segment_fixed_size: 0
    .sgpr_count:     0
    .sgpr_spill_count: 0
    .symbol:         _ZN7rocprim17ROCPRIM_400000_NS6detail17trampoline_kernelINS0_14default_configENS1_21merge_config_selectorINS0_5tupleIJifEEENS0_10empty_typeEEEZNS1_10merge_implIS3_NS0_12zip_iteratorINS5_IJN6thrust23THRUST_200600_302600_NS6detail15normal_iteratorINSC_10device_ptrIKiEEEENSE_INSF_IKfEEEEEEEEESN_NSA_INS5_IJNSE_INSF_IiEEEENSE_INSF_IfEEEEEEEEEPS7_SU_SU_NSC_11hip_rocprim7__merge17predicate_wrapperIifNSC_4lessIiEEEEEE10hipError_tPvRmT0_T1_T2_T3_T4_T5_mmT6_P12ihipStream_tbEUlT_E_NS1_11comp_targetILNS1_3genE3ELNS1_11target_archE908ELNS1_3gpuE7ELNS1_3repE0EEENS1_30default_config_static_selectorELNS0_4arch9wavefront6targetE0EEEvS15_.kd
    .uniform_work_group_size: 1
    .uses_dynamic_stack: false
    .vgpr_count:     0
    .vgpr_spill_count: 0
    .wavefront_size: 32
    .workgroup_processor_mode: 1
  - .args:
      - .offset:         0
        .size:           64
        .value_kind:     by_value
    .group_segment_fixed_size: 0
    .kernarg_segment_align: 8
    .kernarg_segment_size: 64
    .language:       OpenCL C
    .language_version:
      - 2
      - 0
    .max_flat_workgroup_size: 256
    .name:           _ZN7rocprim17ROCPRIM_400000_NS6detail17trampoline_kernelINS0_14default_configENS1_21merge_config_selectorINS0_5tupleIJifEEENS0_10empty_typeEEEZNS1_10merge_implIS3_NS0_12zip_iteratorINS5_IJN6thrust23THRUST_200600_302600_NS6detail15normal_iteratorINSC_10device_ptrIKiEEEENSE_INSF_IKfEEEEEEEEESN_NSA_INS5_IJNSE_INSF_IiEEEENSE_INSF_IfEEEEEEEEEPS7_SU_SU_NSC_11hip_rocprim7__merge17predicate_wrapperIifNSC_4lessIiEEEEEE10hipError_tPvRmT0_T1_T2_T3_T4_T5_mmT6_P12ihipStream_tbEUlT_E_NS1_11comp_targetILNS1_3genE2ELNS1_11target_archE906ELNS1_3gpuE6ELNS1_3repE0EEENS1_30default_config_static_selectorELNS0_4arch9wavefront6targetE0EEEvS15_
    .private_segment_fixed_size: 0
    .sgpr_count:     0
    .sgpr_spill_count: 0
    .symbol:         _ZN7rocprim17ROCPRIM_400000_NS6detail17trampoline_kernelINS0_14default_configENS1_21merge_config_selectorINS0_5tupleIJifEEENS0_10empty_typeEEEZNS1_10merge_implIS3_NS0_12zip_iteratorINS5_IJN6thrust23THRUST_200600_302600_NS6detail15normal_iteratorINSC_10device_ptrIKiEEEENSE_INSF_IKfEEEEEEEEESN_NSA_INS5_IJNSE_INSF_IiEEEENSE_INSF_IfEEEEEEEEEPS7_SU_SU_NSC_11hip_rocprim7__merge17predicate_wrapperIifNSC_4lessIiEEEEEE10hipError_tPvRmT0_T1_T2_T3_T4_T5_mmT6_P12ihipStream_tbEUlT_E_NS1_11comp_targetILNS1_3genE2ELNS1_11target_archE906ELNS1_3gpuE6ELNS1_3repE0EEENS1_30default_config_static_selectorELNS0_4arch9wavefront6targetE0EEEvS15_.kd
    .uniform_work_group_size: 1
    .uses_dynamic_stack: false
    .vgpr_count:     0
    .vgpr_spill_count: 0
    .wavefront_size: 32
    .workgroup_processor_mode: 1
  - .args:
      - .offset:         0
        .size:           64
        .value_kind:     by_value
    .group_segment_fixed_size: 0
    .kernarg_segment_align: 8
    .kernarg_segment_size: 64
    .language:       OpenCL C
    .language_version:
      - 2
      - 0
    .max_flat_workgroup_size: 512
    .name:           _ZN7rocprim17ROCPRIM_400000_NS6detail17trampoline_kernelINS0_14default_configENS1_21merge_config_selectorINS0_5tupleIJifEEENS0_10empty_typeEEEZNS1_10merge_implIS3_NS0_12zip_iteratorINS5_IJN6thrust23THRUST_200600_302600_NS6detail15normal_iteratorINSC_10device_ptrIKiEEEENSE_INSF_IKfEEEEEEEEESN_NSA_INS5_IJNSE_INSF_IiEEEENSE_INSF_IfEEEEEEEEEPS7_SU_SU_NSC_11hip_rocprim7__merge17predicate_wrapperIifNSC_4lessIiEEEEEE10hipError_tPvRmT0_T1_T2_T3_T4_T5_mmT6_P12ihipStream_tbEUlT_E_NS1_11comp_targetILNS1_3genE10ELNS1_11target_archE1201ELNS1_3gpuE5ELNS1_3repE0EEENS1_30default_config_static_selectorELNS0_4arch9wavefront6targetE0EEEvS15_
    .private_segment_fixed_size: 0
    .sgpr_count:     0
    .sgpr_spill_count: 0
    .symbol:         _ZN7rocprim17ROCPRIM_400000_NS6detail17trampoline_kernelINS0_14default_configENS1_21merge_config_selectorINS0_5tupleIJifEEENS0_10empty_typeEEEZNS1_10merge_implIS3_NS0_12zip_iteratorINS5_IJN6thrust23THRUST_200600_302600_NS6detail15normal_iteratorINSC_10device_ptrIKiEEEENSE_INSF_IKfEEEEEEEEESN_NSA_INS5_IJNSE_INSF_IiEEEENSE_INSF_IfEEEEEEEEEPS7_SU_SU_NSC_11hip_rocprim7__merge17predicate_wrapperIifNSC_4lessIiEEEEEE10hipError_tPvRmT0_T1_T2_T3_T4_T5_mmT6_P12ihipStream_tbEUlT_E_NS1_11comp_targetILNS1_3genE10ELNS1_11target_archE1201ELNS1_3gpuE5ELNS1_3repE0EEENS1_30default_config_static_selectorELNS0_4arch9wavefront6targetE0EEEvS15_.kd
    .uniform_work_group_size: 1
    .uses_dynamic_stack: false
    .vgpr_count:     0
    .vgpr_spill_count: 0
    .wavefront_size: 32
    .workgroup_processor_mode: 1
  - .args:
      - .offset:         0
        .size:           64
        .value_kind:     by_value
    .group_segment_fixed_size: 0
    .kernarg_segment_align: 8
    .kernarg_segment_size: 64
    .language:       OpenCL C
    .language_version:
      - 2
      - 0
    .max_flat_workgroup_size: 1024
    .name:           _ZN7rocprim17ROCPRIM_400000_NS6detail17trampoline_kernelINS0_14default_configENS1_21merge_config_selectorINS0_5tupleIJifEEENS0_10empty_typeEEEZNS1_10merge_implIS3_NS0_12zip_iteratorINS5_IJN6thrust23THRUST_200600_302600_NS6detail15normal_iteratorINSC_10device_ptrIKiEEEENSE_INSF_IKfEEEEEEEEESN_NSA_INS5_IJNSE_INSF_IiEEEENSE_INSF_IfEEEEEEEEEPS7_SU_SU_NSC_11hip_rocprim7__merge17predicate_wrapperIifNSC_4lessIiEEEEEE10hipError_tPvRmT0_T1_T2_T3_T4_T5_mmT6_P12ihipStream_tbEUlT_E_NS1_11comp_targetILNS1_3genE10ELNS1_11target_archE1200ELNS1_3gpuE4ELNS1_3repE0EEENS1_30default_config_static_selectorELNS0_4arch9wavefront6targetE0EEEvS15_
    .private_segment_fixed_size: 0
    .sgpr_count:     0
    .sgpr_spill_count: 0
    .symbol:         _ZN7rocprim17ROCPRIM_400000_NS6detail17trampoline_kernelINS0_14default_configENS1_21merge_config_selectorINS0_5tupleIJifEEENS0_10empty_typeEEEZNS1_10merge_implIS3_NS0_12zip_iteratorINS5_IJN6thrust23THRUST_200600_302600_NS6detail15normal_iteratorINSC_10device_ptrIKiEEEENSE_INSF_IKfEEEEEEEEESN_NSA_INS5_IJNSE_INSF_IiEEEENSE_INSF_IfEEEEEEEEEPS7_SU_SU_NSC_11hip_rocprim7__merge17predicate_wrapperIifNSC_4lessIiEEEEEE10hipError_tPvRmT0_T1_T2_T3_T4_T5_mmT6_P12ihipStream_tbEUlT_E_NS1_11comp_targetILNS1_3genE10ELNS1_11target_archE1200ELNS1_3gpuE4ELNS1_3repE0EEENS1_30default_config_static_selectorELNS0_4arch9wavefront6targetE0EEEvS15_.kd
    .uniform_work_group_size: 1
    .uses_dynamic_stack: false
    .vgpr_count:     0
    .vgpr_spill_count: 0
    .wavefront_size: 32
    .workgroup_processor_mode: 1
  - .args:
      - .offset:         0
        .size:           64
        .value_kind:     by_value
    .group_segment_fixed_size: 0
    .kernarg_segment_align: 8
    .kernarg_segment_size: 64
    .language:       OpenCL C
    .language_version:
      - 2
      - 0
    .max_flat_workgroup_size: 1024
    .name:           _ZN7rocprim17ROCPRIM_400000_NS6detail17trampoline_kernelINS0_14default_configENS1_21merge_config_selectorINS0_5tupleIJifEEENS0_10empty_typeEEEZNS1_10merge_implIS3_NS0_12zip_iteratorINS5_IJN6thrust23THRUST_200600_302600_NS6detail15normal_iteratorINSC_10device_ptrIKiEEEENSE_INSF_IKfEEEEEEEEESN_NSA_INS5_IJNSE_INSF_IiEEEENSE_INSF_IfEEEEEEEEEPS7_SU_SU_NSC_11hip_rocprim7__merge17predicate_wrapperIifNSC_4lessIiEEEEEE10hipError_tPvRmT0_T1_T2_T3_T4_T5_mmT6_P12ihipStream_tbEUlT_E_NS1_11comp_targetILNS1_3genE9ELNS1_11target_archE1100ELNS1_3gpuE3ELNS1_3repE0EEENS1_30default_config_static_selectorELNS0_4arch9wavefront6targetE0EEEvS15_
    .private_segment_fixed_size: 0
    .sgpr_count:     0
    .sgpr_spill_count: 0
    .symbol:         _ZN7rocprim17ROCPRIM_400000_NS6detail17trampoline_kernelINS0_14default_configENS1_21merge_config_selectorINS0_5tupleIJifEEENS0_10empty_typeEEEZNS1_10merge_implIS3_NS0_12zip_iteratorINS5_IJN6thrust23THRUST_200600_302600_NS6detail15normal_iteratorINSC_10device_ptrIKiEEEENSE_INSF_IKfEEEEEEEEESN_NSA_INS5_IJNSE_INSF_IiEEEENSE_INSF_IfEEEEEEEEEPS7_SU_SU_NSC_11hip_rocprim7__merge17predicate_wrapperIifNSC_4lessIiEEEEEE10hipError_tPvRmT0_T1_T2_T3_T4_T5_mmT6_P12ihipStream_tbEUlT_E_NS1_11comp_targetILNS1_3genE9ELNS1_11target_archE1100ELNS1_3gpuE3ELNS1_3repE0EEENS1_30default_config_static_selectorELNS0_4arch9wavefront6targetE0EEEvS15_.kd
    .uniform_work_group_size: 1
    .uses_dynamic_stack: false
    .vgpr_count:     0
    .vgpr_spill_count: 0
    .wavefront_size: 32
    .workgroup_processor_mode: 1
  - .args:
      - .offset:         0
        .size:           64
        .value_kind:     by_value
      - .offset:         64
        .size:           4
        .value_kind:     hidden_block_count_x
      - .offset:         68
        .size:           4
        .value_kind:     hidden_block_count_y
      - .offset:         72
        .size:           4
        .value_kind:     hidden_block_count_z
      - .offset:         76
        .size:           2
        .value_kind:     hidden_group_size_x
      - .offset:         78
        .size:           2
        .value_kind:     hidden_group_size_y
      - .offset:         80
        .size:           2
        .value_kind:     hidden_group_size_z
      - .offset:         82
        .size:           2
        .value_kind:     hidden_remainder_x
      - .offset:         84
        .size:           2
        .value_kind:     hidden_remainder_y
      - .offset:         86
        .size:           2
        .value_kind:     hidden_remainder_z
      - .offset:         104
        .size:           8
        .value_kind:     hidden_global_offset_x
      - .offset:         112
        .size:           8
        .value_kind:     hidden_global_offset_y
      - .offset:         120
        .size:           8
        .value_kind:     hidden_global_offset_z
      - .offset:         128
        .size:           2
        .value_kind:     hidden_grid_dims
    .group_segment_fixed_size: 0
    .kernarg_segment_align: 8
    .kernarg_segment_size: 320
    .language:       OpenCL C
    .language_version:
      - 2
      - 0
    .max_flat_workgroup_size: 256
    .name:           _ZN7rocprim17ROCPRIM_400000_NS6detail17trampoline_kernelINS0_14default_configENS1_21merge_config_selectorINS0_5tupleIJifEEENS0_10empty_typeEEEZNS1_10merge_implIS3_NS0_12zip_iteratorINS5_IJN6thrust23THRUST_200600_302600_NS6detail15normal_iteratorINSC_10device_ptrIKiEEEENSE_INSF_IKfEEEEEEEEESN_NSA_INS5_IJNSE_INSF_IiEEEENSE_INSF_IfEEEEEEEEEPS7_SU_SU_NSC_11hip_rocprim7__merge17predicate_wrapperIifNSC_4lessIiEEEEEE10hipError_tPvRmT0_T1_T2_T3_T4_T5_mmT6_P12ihipStream_tbEUlT_E_NS1_11comp_targetILNS1_3genE8ELNS1_11target_archE1030ELNS1_3gpuE2ELNS1_3repE0EEENS1_30default_config_static_selectorELNS0_4arch9wavefront6targetE0EEEvS15_
    .private_segment_fixed_size: 0
    .sgpr_count:     18
    .sgpr_spill_count: 0
    .symbol:         _ZN7rocprim17ROCPRIM_400000_NS6detail17trampoline_kernelINS0_14default_configENS1_21merge_config_selectorINS0_5tupleIJifEEENS0_10empty_typeEEEZNS1_10merge_implIS3_NS0_12zip_iteratorINS5_IJN6thrust23THRUST_200600_302600_NS6detail15normal_iteratorINSC_10device_ptrIKiEEEENSE_INSF_IKfEEEEEEEEESN_NSA_INS5_IJNSE_INSF_IiEEEENSE_INSF_IfEEEEEEEEEPS7_SU_SU_NSC_11hip_rocprim7__merge17predicate_wrapperIifNSC_4lessIiEEEEEE10hipError_tPvRmT0_T1_T2_T3_T4_T5_mmT6_P12ihipStream_tbEUlT_E_NS1_11comp_targetILNS1_3genE8ELNS1_11target_archE1030ELNS1_3gpuE2ELNS1_3repE0EEENS1_30default_config_static_selectorELNS0_4arch9wavefront6targetE0EEEvS15_.kd
    .uniform_work_group_size: 1
    .uses_dynamic_stack: false
    .vgpr_count:     13
    .vgpr_spill_count: 0
    .wavefront_size: 32
    .workgroup_processor_mode: 1
  - .args:
      - .offset:         0
        .size:           112
        .value_kind:     by_value
    .group_segment_fixed_size: 0
    .kernarg_segment_align: 8
    .kernarg_segment_size: 112
    .language:       OpenCL C
    .language_version:
      - 2
      - 0
    .max_flat_workgroup_size: 256
    .name:           _ZN7rocprim17ROCPRIM_400000_NS6detail17trampoline_kernelINS0_14default_configENS1_21merge_config_selectorINS0_5tupleIJifEEENS0_10empty_typeEEEZNS1_10merge_implIS3_NS0_12zip_iteratorINS5_IJN6thrust23THRUST_200600_302600_NS6detail15normal_iteratorINSC_10device_ptrIKiEEEENSE_INSF_IKfEEEEEEEEESN_NSA_INS5_IJNSE_INSF_IiEEEENSE_INSF_IfEEEEEEEEEPS7_SU_SU_NSC_11hip_rocprim7__merge17predicate_wrapperIifNSC_4lessIiEEEEEE10hipError_tPvRmT0_T1_T2_T3_T4_T5_mmT6_P12ihipStream_tbEUlT_E0_NS1_11comp_targetILNS1_3genE0ELNS1_11target_archE4294967295ELNS1_3gpuE0ELNS1_3repE0EEENS1_30default_config_static_selectorELNS0_4arch9wavefront6targetE0EEEvS15_
    .private_segment_fixed_size: 0
    .sgpr_count:     0
    .sgpr_spill_count: 0
    .symbol:         _ZN7rocprim17ROCPRIM_400000_NS6detail17trampoline_kernelINS0_14default_configENS1_21merge_config_selectorINS0_5tupleIJifEEENS0_10empty_typeEEEZNS1_10merge_implIS3_NS0_12zip_iteratorINS5_IJN6thrust23THRUST_200600_302600_NS6detail15normal_iteratorINSC_10device_ptrIKiEEEENSE_INSF_IKfEEEEEEEEESN_NSA_INS5_IJNSE_INSF_IiEEEENSE_INSF_IfEEEEEEEEEPS7_SU_SU_NSC_11hip_rocprim7__merge17predicate_wrapperIifNSC_4lessIiEEEEEE10hipError_tPvRmT0_T1_T2_T3_T4_T5_mmT6_P12ihipStream_tbEUlT_E0_NS1_11comp_targetILNS1_3genE0ELNS1_11target_archE4294967295ELNS1_3gpuE0ELNS1_3repE0EEENS1_30default_config_static_selectorELNS0_4arch9wavefront6targetE0EEEvS15_.kd
    .uniform_work_group_size: 1
    .uses_dynamic_stack: false
    .vgpr_count:     0
    .vgpr_spill_count: 0
    .wavefront_size: 32
    .workgroup_processor_mode: 1
  - .args:
      - .offset:         0
        .size:           112
        .value_kind:     by_value
    .group_segment_fixed_size: 0
    .kernarg_segment_align: 8
    .kernarg_segment_size: 112
    .language:       OpenCL C
    .language_version:
      - 2
      - 0
    .max_flat_workgroup_size: 256
    .name:           _ZN7rocprim17ROCPRIM_400000_NS6detail17trampoline_kernelINS0_14default_configENS1_21merge_config_selectorINS0_5tupleIJifEEENS0_10empty_typeEEEZNS1_10merge_implIS3_NS0_12zip_iteratorINS5_IJN6thrust23THRUST_200600_302600_NS6detail15normal_iteratorINSC_10device_ptrIKiEEEENSE_INSF_IKfEEEEEEEEESN_NSA_INS5_IJNSE_INSF_IiEEEENSE_INSF_IfEEEEEEEEEPS7_SU_SU_NSC_11hip_rocprim7__merge17predicate_wrapperIifNSC_4lessIiEEEEEE10hipError_tPvRmT0_T1_T2_T3_T4_T5_mmT6_P12ihipStream_tbEUlT_E0_NS1_11comp_targetILNS1_3genE5ELNS1_11target_archE942ELNS1_3gpuE9ELNS1_3repE0EEENS1_30default_config_static_selectorELNS0_4arch9wavefront6targetE0EEEvS15_
    .private_segment_fixed_size: 0
    .sgpr_count:     0
    .sgpr_spill_count: 0
    .symbol:         _ZN7rocprim17ROCPRIM_400000_NS6detail17trampoline_kernelINS0_14default_configENS1_21merge_config_selectorINS0_5tupleIJifEEENS0_10empty_typeEEEZNS1_10merge_implIS3_NS0_12zip_iteratorINS5_IJN6thrust23THRUST_200600_302600_NS6detail15normal_iteratorINSC_10device_ptrIKiEEEENSE_INSF_IKfEEEEEEEEESN_NSA_INS5_IJNSE_INSF_IiEEEENSE_INSF_IfEEEEEEEEEPS7_SU_SU_NSC_11hip_rocprim7__merge17predicate_wrapperIifNSC_4lessIiEEEEEE10hipError_tPvRmT0_T1_T2_T3_T4_T5_mmT6_P12ihipStream_tbEUlT_E0_NS1_11comp_targetILNS1_3genE5ELNS1_11target_archE942ELNS1_3gpuE9ELNS1_3repE0EEENS1_30default_config_static_selectorELNS0_4arch9wavefront6targetE0EEEvS15_.kd
    .uniform_work_group_size: 1
    .uses_dynamic_stack: false
    .vgpr_count:     0
    .vgpr_spill_count: 0
    .wavefront_size: 32
    .workgroup_processor_mode: 1
  - .args:
      - .offset:         0
        .size:           112
        .value_kind:     by_value
    .group_segment_fixed_size: 0
    .kernarg_segment_align: 8
    .kernarg_segment_size: 112
    .language:       OpenCL C
    .language_version:
      - 2
      - 0
    .max_flat_workgroup_size: 256
    .name:           _ZN7rocprim17ROCPRIM_400000_NS6detail17trampoline_kernelINS0_14default_configENS1_21merge_config_selectorINS0_5tupleIJifEEENS0_10empty_typeEEEZNS1_10merge_implIS3_NS0_12zip_iteratorINS5_IJN6thrust23THRUST_200600_302600_NS6detail15normal_iteratorINSC_10device_ptrIKiEEEENSE_INSF_IKfEEEEEEEEESN_NSA_INS5_IJNSE_INSF_IiEEEENSE_INSF_IfEEEEEEEEEPS7_SU_SU_NSC_11hip_rocprim7__merge17predicate_wrapperIifNSC_4lessIiEEEEEE10hipError_tPvRmT0_T1_T2_T3_T4_T5_mmT6_P12ihipStream_tbEUlT_E0_NS1_11comp_targetILNS1_3genE4ELNS1_11target_archE910ELNS1_3gpuE8ELNS1_3repE0EEENS1_30default_config_static_selectorELNS0_4arch9wavefront6targetE0EEEvS15_
    .private_segment_fixed_size: 0
    .sgpr_count:     0
    .sgpr_spill_count: 0
    .symbol:         _ZN7rocprim17ROCPRIM_400000_NS6detail17trampoline_kernelINS0_14default_configENS1_21merge_config_selectorINS0_5tupleIJifEEENS0_10empty_typeEEEZNS1_10merge_implIS3_NS0_12zip_iteratorINS5_IJN6thrust23THRUST_200600_302600_NS6detail15normal_iteratorINSC_10device_ptrIKiEEEENSE_INSF_IKfEEEEEEEEESN_NSA_INS5_IJNSE_INSF_IiEEEENSE_INSF_IfEEEEEEEEEPS7_SU_SU_NSC_11hip_rocprim7__merge17predicate_wrapperIifNSC_4lessIiEEEEEE10hipError_tPvRmT0_T1_T2_T3_T4_T5_mmT6_P12ihipStream_tbEUlT_E0_NS1_11comp_targetILNS1_3genE4ELNS1_11target_archE910ELNS1_3gpuE8ELNS1_3repE0EEENS1_30default_config_static_selectorELNS0_4arch9wavefront6targetE0EEEvS15_.kd
    .uniform_work_group_size: 1
    .uses_dynamic_stack: false
    .vgpr_count:     0
    .vgpr_spill_count: 0
    .wavefront_size: 32
    .workgroup_processor_mode: 1
  - .args:
      - .offset:         0
        .size:           112
        .value_kind:     by_value
    .group_segment_fixed_size: 0
    .kernarg_segment_align: 8
    .kernarg_segment_size: 112
    .language:       OpenCL C
    .language_version:
      - 2
      - 0
    .max_flat_workgroup_size: 256
    .name:           _ZN7rocprim17ROCPRIM_400000_NS6detail17trampoline_kernelINS0_14default_configENS1_21merge_config_selectorINS0_5tupleIJifEEENS0_10empty_typeEEEZNS1_10merge_implIS3_NS0_12zip_iteratorINS5_IJN6thrust23THRUST_200600_302600_NS6detail15normal_iteratorINSC_10device_ptrIKiEEEENSE_INSF_IKfEEEEEEEEESN_NSA_INS5_IJNSE_INSF_IiEEEENSE_INSF_IfEEEEEEEEEPS7_SU_SU_NSC_11hip_rocprim7__merge17predicate_wrapperIifNSC_4lessIiEEEEEE10hipError_tPvRmT0_T1_T2_T3_T4_T5_mmT6_P12ihipStream_tbEUlT_E0_NS1_11comp_targetILNS1_3genE3ELNS1_11target_archE908ELNS1_3gpuE7ELNS1_3repE0EEENS1_30default_config_static_selectorELNS0_4arch9wavefront6targetE0EEEvS15_
    .private_segment_fixed_size: 0
    .sgpr_count:     0
    .sgpr_spill_count: 0
    .symbol:         _ZN7rocprim17ROCPRIM_400000_NS6detail17trampoline_kernelINS0_14default_configENS1_21merge_config_selectorINS0_5tupleIJifEEENS0_10empty_typeEEEZNS1_10merge_implIS3_NS0_12zip_iteratorINS5_IJN6thrust23THRUST_200600_302600_NS6detail15normal_iteratorINSC_10device_ptrIKiEEEENSE_INSF_IKfEEEEEEEEESN_NSA_INS5_IJNSE_INSF_IiEEEENSE_INSF_IfEEEEEEEEEPS7_SU_SU_NSC_11hip_rocprim7__merge17predicate_wrapperIifNSC_4lessIiEEEEEE10hipError_tPvRmT0_T1_T2_T3_T4_T5_mmT6_P12ihipStream_tbEUlT_E0_NS1_11comp_targetILNS1_3genE3ELNS1_11target_archE908ELNS1_3gpuE7ELNS1_3repE0EEENS1_30default_config_static_selectorELNS0_4arch9wavefront6targetE0EEEvS15_.kd
    .uniform_work_group_size: 1
    .uses_dynamic_stack: false
    .vgpr_count:     0
    .vgpr_spill_count: 0
    .wavefront_size: 32
    .workgroup_processor_mode: 1
  - .args:
      - .offset:         0
        .size:           112
        .value_kind:     by_value
    .group_segment_fixed_size: 0
    .kernarg_segment_align: 8
    .kernarg_segment_size: 112
    .language:       OpenCL C
    .language_version:
      - 2
      - 0
    .max_flat_workgroup_size: 256
    .name:           _ZN7rocprim17ROCPRIM_400000_NS6detail17trampoline_kernelINS0_14default_configENS1_21merge_config_selectorINS0_5tupleIJifEEENS0_10empty_typeEEEZNS1_10merge_implIS3_NS0_12zip_iteratorINS5_IJN6thrust23THRUST_200600_302600_NS6detail15normal_iteratorINSC_10device_ptrIKiEEEENSE_INSF_IKfEEEEEEEEESN_NSA_INS5_IJNSE_INSF_IiEEEENSE_INSF_IfEEEEEEEEEPS7_SU_SU_NSC_11hip_rocprim7__merge17predicate_wrapperIifNSC_4lessIiEEEEEE10hipError_tPvRmT0_T1_T2_T3_T4_T5_mmT6_P12ihipStream_tbEUlT_E0_NS1_11comp_targetILNS1_3genE2ELNS1_11target_archE906ELNS1_3gpuE6ELNS1_3repE0EEENS1_30default_config_static_selectorELNS0_4arch9wavefront6targetE0EEEvS15_
    .private_segment_fixed_size: 0
    .sgpr_count:     0
    .sgpr_spill_count: 0
    .symbol:         _ZN7rocprim17ROCPRIM_400000_NS6detail17trampoline_kernelINS0_14default_configENS1_21merge_config_selectorINS0_5tupleIJifEEENS0_10empty_typeEEEZNS1_10merge_implIS3_NS0_12zip_iteratorINS5_IJN6thrust23THRUST_200600_302600_NS6detail15normal_iteratorINSC_10device_ptrIKiEEEENSE_INSF_IKfEEEEEEEEESN_NSA_INS5_IJNSE_INSF_IiEEEENSE_INSF_IfEEEEEEEEEPS7_SU_SU_NSC_11hip_rocprim7__merge17predicate_wrapperIifNSC_4lessIiEEEEEE10hipError_tPvRmT0_T1_T2_T3_T4_T5_mmT6_P12ihipStream_tbEUlT_E0_NS1_11comp_targetILNS1_3genE2ELNS1_11target_archE906ELNS1_3gpuE6ELNS1_3repE0EEENS1_30default_config_static_selectorELNS0_4arch9wavefront6targetE0EEEvS15_.kd
    .uniform_work_group_size: 1
    .uses_dynamic_stack: false
    .vgpr_count:     0
    .vgpr_spill_count: 0
    .wavefront_size: 32
    .workgroup_processor_mode: 1
  - .args:
      - .offset:         0
        .size:           112
        .value_kind:     by_value
    .group_segment_fixed_size: 0
    .kernarg_segment_align: 8
    .kernarg_segment_size: 112
    .language:       OpenCL C
    .language_version:
      - 2
      - 0
    .max_flat_workgroup_size: 512
    .name:           _ZN7rocprim17ROCPRIM_400000_NS6detail17trampoline_kernelINS0_14default_configENS1_21merge_config_selectorINS0_5tupleIJifEEENS0_10empty_typeEEEZNS1_10merge_implIS3_NS0_12zip_iteratorINS5_IJN6thrust23THRUST_200600_302600_NS6detail15normal_iteratorINSC_10device_ptrIKiEEEENSE_INSF_IKfEEEEEEEEESN_NSA_INS5_IJNSE_INSF_IiEEEENSE_INSF_IfEEEEEEEEEPS7_SU_SU_NSC_11hip_rocprim7__merge17predicate_wrapperIifNSC_4lessIiEEEEEE10hipError_tPvRmT0_T1_T2_T3_T4_T5_mmT6_P12ihipStream_tbEUlT_E0_NS1_11comp_targetILNS1_3genE10ELNS1_11target_archE1201ELNS1_3gpuE5ELNS1_3repE0EEENS1_30default_config_static_selectorELNS0_4arch9wavefront6targetE0EEEvS15_
    .private_segment_fixed_size: 0
    .sgpr_count:     0
    .sgpr_spill_count: 0
    .symbol:         _ZN7rocprim17ROCPRIM_400000_NS6detail17trampoline_kernelINS0_14default_configENS1_21merge_config_selectorINS0_5tupleIJifEEENS0_10empty_typeEEEZNS1_10merge_implIS3_NS0_12zip_iteratorINS5_IJN6thrust23THRUST_200600_302600_NS6detail15normal_iteratorINSC_10device_ptrIKiEEEENSE_INSF_IKfEEEEEEEEESN_NSA_INS5_IJNSE_INSF_IiEEEENSE_INSF_IfEEEEEEEEEPS7_SU_SU_NSC_11hip_rocprim7__merge17predicate_wrapperIifNSC_4lessIiEEEEEE10hipError_tPvRmT0_T1_T2_T3_T4_T5_mmT6_P12ihipStream_tbEUlT_E0_NS1_11comp_targetILNS1_3genE10ELNS1_11target_archE1201ELNS1_3gpuE5ELNS1_3repE0EEENS1_30default_config_static_selectorELNS0_4arch9wavefront6targetE0EEEvS15_.kd
    .uniform_work_group_size: 1
    .uses_dynamic_stack: false
    .vgpr_count:     0
    .vgpr_spill_count: 0
    .wavefront_size: 32
    .workgroup_processor_mode: 1
  - .args:
      - .offset:         0
        .size:           112
        .value_kind:     by_value
    .group_segment_fixed_size: 0
    .kernarg_segment_align: 8
    .kernarg_segment_size: 112
    .language:       OpenCL C
    .language_version:
      - 2
      - 0
    .max_flat_workgroup_size: 1024
    .name:           _ZN7rocprim17ROCPRIM_400000_NS6detail17trampoline_kernelINS0_14default_configENS1_21merge_config_selectorINS0_5tupleIJifEEENS0_10empty_typeEEEZNS1_10merge_implIS3_NS0_12zip_iteratorINS5_IJN6thrust23THRUST_200600_302600_NS6detail15normal_iteratorINSC_10device_ptrIKiEEEENSE_INSF_IKfEEEEEEEEESN_NSA_INS5_IJNSE_INSF_IiEEEENSE_INSF_IfEEEEEEEEEPS7_SU_SU_NSC_11hip_rocprim7__merge17predicate_wrapperIifNSC_4lessIiEEEEEE10hipError_tPvRmT0_T1_T2_T3_T4_T5_mmT6_P12ihipStream_tbEUlT_E0_NS1_11comp_targetILNS1_3genE10ELNS1_11target_archE1200ELNS1_3gpuE4ELNS1_3repE0EEENS1_30default_config_static_selectorELNS0_4arch9wavefront6targetE0EEEvS15_
    .private_segment_fixed_size: 0
    .sgpr_count:     0
    .sgpr_spill_count: 0
    .symbol:         _ZN7rocprim17ROCPRIM_400000_NS6detail17trampoline_kernelINS0_14default_configENS1_21merge_config_selectorINS0_5tupleIJifEEENS0_10empty_typeEEEZNS1_10merge_implIS3_NS0_12zip_iteratorINS5_IJN6thrust23THRUST_200600_302600_NS6detail15normal_iteratorINSC_10device_ptrIKiEEEENSE_INSF_IKfEEEEEEEEESN_NSA_INS5_IJNSE_INSF_IiEEEENSE_INSF_IfEEEEEEEEEPS7_SU_SU_NSC_11hip_rocprim7__merge17predicate_wrapperIifNSC_4lessIiEEEEEE10hipError_tPvRmT0_T1_T2_T3_T4_T5_mmT6_P12ihipStream_tbEUlT_E0_NS1_11comp_targetILNS1_3genE10ELNS1_11target_archE1200ELNS1_3gpuE4ELNS1_3repE0EEENS1_30default_config_static_selectorELNS0_4arch9wavefront6targetE0EEEvS15_.kd
    .uniform_work_group_size: 1
    .uses_dynamic_stack: false
    .vgpr_count:     0
    .vgpr_spill_count: 0
    .wavefront_size: 32
    .workgroup_processor_mode: 1
  - .args:
      - .offset:         0
        .size:           112
        .value_kind:     by_value
    .group_segment_fixed_size: 0
    .kernarg_segment_align: 8
    .kernarg_segment_size: 112
    .language:       OpenCL C
    .language_version:
      - 2
      - 0
    .max_flat_workgroup_size: 1024
    .name:           _ZN7rocprim17ROCPRIM_400000_NS6detail17trampoline_kernelINS0_14default_configENS1_21merge_config_selectorINS0_5tupleIJifEEENS0_10empty_typeEEEZNS1_10merge_implIS3_NS0_12zip_iteratorINS5_IJN6thrust23THRUST_200600_302600_NS6detail15normal_iteratorINSC_10device_ptrIKiEEEENSE_INSF_IKfEEEEEEEEESN_NSA_INS5_IJNSE_INSF_IiEEEENSE_INSF_IfEEEEEEEEEPS7_SU_SU_NSC_11hip_rocprim7__merge17predicate_wrapperIifNSC_4lessIiEEEEEE10hipError_tPvRmT0_T1_T2_T3_T4_T5_mmT6_P12ihipStream_tbEUlT_E0_NS1_11comp_targetILNS1_3genE9ELNS1_11target_archE1100ELNS1_3gpuE3ELNS1_3repE0EEENS1_30default_config_static_selectorELNS0_4arch9wavefront6targetE0EEEvS15_
    .private_segment_fixed_size: 0
    .sgpr_count:     0
    .sgpr_spill_count: 0
    .symbol:         _ZN7rocprim17ROCPRIM_400000_NS6detail17trampoline_kernelINS0_14default_configENS1_21merge_config_selectorINS0_5tupleIJifEEENS0_10empty_typeEEEZNS1_10merge_implIS3_NS0_12zip_iteratorINS5_IJN6thrust23THRUST_200600_302600_NS6detail15normal_iteratorINSC_10device_ptrIKiEEEENSE_INSF_IKfEEEEEEEEESN_NSA_INS5_IJNSE_INSF_IiEEEENSE_INSF_IfEEEEEEEEEPS7_SU_SU_NSC_11hip_rocprim7__merge17predicate_wrapperIifNSC_4lessIiEEEEEE10hipError_tPvRmT0_T1_T2_T3_T4_T5_mmT6_P12ihipStream_tbEUlT_E0_NS1_11comp_targetILNS1_3genE9ELNS1_11target_archE1100ELNS1_3gpuE3ELNS1_3repE0EEENS1_30default_config_static_selectorELNS0_4arch9wavefront6targetE0EEEvS15_.kd
    .uniform_work_group_size: 1
    .uses_dynamic_stack: false
    .vgpr_count:     0
    .vgpr_spill_count: 0
    .wavefront_size: 32
    .workgroup_processor_mode: 1
  - .args:
      - .offset:         0
        .size:           112
        .value_kind:     by_value
    .group_segment_fixed_size: 33792
    .kernarg_segment_align: 8
    .kernarg_segment_size: 112
    .language:       OpenCL C
    .language_version:
      - 2
      - 0
    .max_flat_workgroup_size: 256
    .name:           _ZN7rocprim17ROCPRIM_400000_NS6detail17trampoline_kernelINS0_14default_configENS1_21merge_config_selectorINS0_5tupleIJifEEENS0_10empty_typeEEEZNS1_10merge_implIS3_NS0_12zip_iteratorINS5_IJN6thrust23THRUST_200600_302600_NS6detail15normal_iteratorINSC_10device_ptrIKiEEEENSE_INSF_IKfEEEEEEEEESN_NSA_INS5_IJNSE_INSF_IiEEEENSE_INSF_IfEEEEEEEEEPS7_SU_SU_NSC_11hip_rocprim7__merge17predicate_wrapperIifNSC_4lessIiEEEEEE10hipError_tPvRmT0_T1_T2_T3_T4_T5_mmT6_P12ihipStream_tbEUlT_E0_NS1_11comp_targetILNS1_3genE8ELNS1_11target_archE1030ELNS1_3gpuE2ELNS1_3repE0EEENS1_30default_config_static_selectorELNS0_4arch9wavefront6targetE0EEEvS15_
    .private_segment_fixed_size: 0
    .sgpr_count:     30
    .sgpr_spill_count: 0
    .symbol:         _ZN7rocprim17ROCPRIM_400000_NS6detail17trampoline_kernelINS0_14default_configENS1_21merge_config_selectorINS0_5tupleIJifEEENS0_10empty_typeEEEZNS1_10merge_implIS3_NS0_12zip_iteratorINS5_IJN6thrust23THRUST_200600_302600_NS6detail15normal_iteratorINSC_10device_ptrIKiEEEENSE_INSF_IKfEEEEEEEEESN_NSA_INS5_IJNSE_INSF_IiEEEENSE_INSF_IfEEEEEEEEEPS7_SU_SU_NSC_11hip_rocprim7__merge17predicate_wrapperIifNSC_4lessIiEEEEEE10hipError_tPvRmT0_T1_T2_T3_T4_T5_mmT6_P12ihipStream_tbEUlT_E0_NS1_11comp_targetILNS1_3genE8ELNS1_11target_archE1030ELNS1_3gpuE2ELNS1_3repE0EEENS1_30default_config_static_selectorELNS0_4arch9wavefront6targetE0EEEvS15_.kd
    .uniform_work_group_size: 1
    .uses_dynamic_stack: false
    .vgpr_count:     76
    .vgpr_spill_count: 0
    .wavefront_size: 32
    .workgroup_processor_mode: 1
  - .args:
      - .offset:         0
        .size:           64
        .value_kind:     by_value
    .group_segment_fixed_size: 0
    .kernarg_segment_align: 8
    .kernarg_segment_size: 64
    .language:       OpenCL C
    .language_version:
      - 2
      - 0
    .max_flat_workgroup_size: 256
    .name:           _ZN7rocprim17ROCPRIM_400000_NS6detail17trampoline_kernelINS0_14default_configENS1_22reduce_config_selectorImEEZNS1_11reduce_implILb1ES3_PmS7_mN6thrust23THRUST_200600_302600_NS4plusImEEEE10hipError_tPvRmT1_T2_T3_mT4_P12ihipStream_tbEUlT_E0_NS1_11comp_targetILNS1_3genE0ELNS1_11target_archE4294967295ELNS1_3gpuE0ELNS1_3repE0EEENS1_30default_config_static_selectorELNS0_4arch9wavefront6targetE0EEEvSF_
    .private_segment_fixed_size: 0
    .sgpr_count:     0
    .sgpr_spill_count: 0
    .symbol:         _ZN7rocprim17ROCPRIM_400000_NS6detail17trampoline_kernelINS0_14default_configENS1_22reduce_config_selectorImEEZNS1_11reduce_implILb1ES3_PmS7_mN6thrust23THRUST_200600_302600_NS4plusImEEEE10hipError_tPvRmT1_T2_T3_mT4_P12ihipStream_tbEUlT_E0_NS1_11comp_targetILNS1_3genE0ELNS1_11target_archE4294967295ELNS1_3gpuE0ELNS1_3repE0EEENS1_30default_config_static_selectorELNS0_4arch9wavefront6targetE0EEEvSF_.kd
    .uniform_work_group_size: 1
    .uses_dynamic_stack: false
    .vgpr_count:     0
    .vgpr_spill_count: 0
    .wavefront_size: 32
    .workgroup_processor_mode: 1
  - .args:
      - .offset:         0
        .size:           64
        .value_kind:     by_value
    .group_segment_fixed_size: 0
    .kernarg_segment_align: 8
    .kernarg_segment_size: 64
    .language:       OpenCL C
    .language_version:
      - 2
      - 0
    .max_flat_workgroup_size: 256
    .name:           _ZN7rocprim17ROCPRIM_400000_NS6detail17trampoline_kernelINS0_14default_configENS1_22reduce_config_selectorImEEZNS1_11reduce_implILb1ES3_PmS7_mN6thrust23THRUST_200600_302600_NS4plusImEEEE10hipError_tPvRmT1_T2_T3_mT4_P12ihipStream_tbEUlT_E0_NS1_11comp_targetILNS1_3genE5ELNS1_11target_archE942ELNS1_3gpuE9ELNS1_3repE0EEENS1_30default_config_static_selectorELNS0_4arch9wavefront6targetE0EEEvSF_
    .private_segment_fixed_size: 0
    .sgpr_count:     0
    .sgpr_spill_count: 0
    .symbol:         _ZN7rocprim17ROCPRIM_400000_NS6detail17trampoline_kernelINS0_14default_configENS1_22reduce_config_selectorImEEZNS1_11reduce_implILb1ES3_PmS7_mN6thrust23THRUST_200600_302600_NS4plusImEEEE10hipError_tPvRmT1_T2_T3_mT4_P12ihipStream_tbEUlT_E0_NS1_11comp_targetILNS1_3genE5ELNS1_11target_archE942ELNS1_3gpuE9ELNS1_3repE0EEENS1_30default_config_static_selectorELNS0_4arch9wavefront6targetE0EEEvSF_.kd
    .uniform_work_group_size: 1
    .uses_dynamic_stack: false
    .vgpr_count:     0
    .vgpr_spill_count: 0
    .wavefront_size: 32
    .workgroup_processor_mode: 1
  - .args:
      - .offset:         0
        .size:           64
        .value_kind:     by_value
    .group_segment_fixed_size: 0
    .kernarg_segment_align: 8
    .kernarg_segment_size: 64
    .language:       OpenCL C
    .language_version:
      - 2
      - 0
    .max_flat_workgroup_size: 256
    .name:           _ZN7rocprim17ROCPRIM_400000_NS6detail17trampoline_kernelINS0_14default_configENS1_22reduce_config_selectorImEEZNS1_11reduce_implILb1ES3_PmS7_mN6thrust23THRUST_200600_302600_NS4plusImEEEE10hipError_tPvRmT1_T2_T3_mT4_P12ihipStream_tbEUlT_E0_NS1_11comp_targetILNS1_3genE4ELNS1_11target_archE910ELNS1_3gpuE8ELNS1_3repE0EEENS1_30default_config_static_selectorELNS0_4arch9wavefront6targetE0EEEvSF_
    .private_segment_fixed_size: 0
    .sgpr_count:     0
    .sgpr_spill_count: 0
    .symbol:         _ZN7rocprim17ROCPRIM_400000_NS6detail17trampoline_kernelINS0_14default_configENS1_22reduce_config_selectorImEEZNS1_11reduce_implILb1ES3_PmS7_mN6thrust23THRUST_200600_302600_NS4plusImEEEE10hipError_tPvRmT1_T2_T3_mT4_P12ihipStream_tbEUlT_E0_NS1_11comp_targetILNS1_3genE4ELNS1_11target_archE910ELNS1_3gpuE8ELNS1_3repE0EEENS1_30default_config_static_selectorELNS0_4arch9wavefront6targetE0EEEvSF_.kd
    .uniform_work_group_size: 1
    .uses_dynamic_stack: false
    .vgpr_count:     0
    .vgpr_spill_count: 0
    .wavefront_size: 32
    .workgroup_processor_mode: 1
  - .args:
      - .offset:         0
        .size:           64
        .value_kind:     by_value
    .group_segment_fixed_size: 0
    .kernarg_segment_align: 8
    .kernarg_segment_size: 64
    .language:       OpenCL C
    .language_version:
      - 2
      - 0
    .max_flat_workgroup_size: 256
    .name:           _ZN7rocprim17ROCPRIM_400000_NS6detail17trampoline_kernelINS0_14default_configENS1_22reduce_config_selectorImEEZNS1_11reduce_implILb1ES3_PmS7_mN6thrust23THRUST_200600_302600_NS4plusImEEEE10hipError_tPvRmT1_T2_T3_mT4_P12ihipStream_tbEUlT_E0_NS1_11comp_targetILNS1_3genE3ELNS1_11target_archE908ELNS1_3gpuE7ELNS1_3repE0EEENS1_30default_config_static_selectorELNS0_4arch9wavefront6targetE0EEEvSF_
    .private_segment_fixed_size: 0
    .sgpr_count:     0
    .sgpr_spill_count: 0
    .symbol:         _ZN7rocprim17ROCPRIM_400000_NS6detail17trampoline_kernelINS0_14default_configENS1_22reduce_config_selectorImEEZNS1_11reduce_implILb1ES3_PmS7_mN6thrust23THRUST_200600_302600_NS4plusImEEEE10hipError_tPvRmT1_T2_T3_mT4_P12ihipStream_tbEUlT_E0_NS1_11comp_targetILNS1_3genE3ELNS1_11target_archE908ELNS1_3gpuE7ELNS1_3repE0EEENS1_30default_config_static_selectorELNS0_4arch9wavefront6targetE0EEEvSF_.kd
    .uniform_work_group_size: 1
    .uses_dynamic_stack: false
    .vgpr_count:     0
    .vgpr_spill_count: 0
    .wavefront_size: 32
    .workgroup_processor_mode: 1
  - .args:
      - .offset:         0
        .size:           64
        .value_kind:     by_value
    .group_segment_fixed_size: 0
    .kernarg_segment_align: 8
    .kernarg_segment_size: 64
    .language:       OpenCL C
    .language_version:
      - 2
      - 0
    .max_flat_workgroup_size: 256
    .name:           _ZN7rocprim17ROCPRIM_400000_NS6detail17trampoline_kernelINS0_14default_configENS1_22reduce_config_selectorImEEZNS1_11reduce_implILb1ES3_PmS7_mN6thrust23THRUST_200600_302600_NS4plusImEEEE10hipError_tPvRmT1_T2_T3_mT4_P12ihipStream_tbEUlT_E0_NS1_11comp_targetILNS1_3genE2ELNS1_11target_archE906ELNS1_3gpuE6ELNS1_3repE0EEENS1_30default_config_static_selectorELNS0_4arch9wavefront6targetE0EEEvSF_
    .private_segment_fixed_size: 0
    .sgpr_count:     0
    .sgpr_spill_count: 0
    .symbol:         _ZN7rocprim17ROCPRIM_400000_NS6detail17trampoline_kernelINS0_14default_configENS1_22reduce_config_selectorImEEZNS1_11reduce_implILb1ES3_PmS7_mN6thrust23THRUST_200600_302600_NS4plusImEEEE10hipError_tPvRmT1_T2_T3_mT4_P12ihipStream_tbEUlT_E0_NS1_11comp_targetILNS1_3genE2ELNS1_11target_archE906ELNS1_3gpuE6ELNS1_3repE0EEENS1_30default_config_static_selectorELNS0_4arch9wavefront6targetE0EEEvSF_.kd
    .uniform_work_group_size: 1
    .uses_dynamic_stack: false
    .vgpr_count:     0
    .vgpr_spill_count: 0
    .wavefront_size: 32
    .workgroup_processor_mode: 1
  - .args:
      - .offset:         0
        .size:           64
        .value_kind:     by_value
    .group_segment_fixed_size: 0
    .kernarg_segment_align: 8
    .kernarg_segment_size: 64
    .language:       OpenCL C
    .language_version:
      - 2
      - 0
    .max_flat_workgroup_size: 256
    .name:           _ZN7rocprim17ROCPRIM_400000_NS6detail17trampoline_kernelINS0_14default_configENS1_22reduce_config_selectorImEEZNS1_11reduce_implILb1ES3_PmS7_mN6thrust23THRUST_200600_302600_NS4plusImEEEE10hipError_tPvRmT1_T2_T3_mT4_P12ihipStream_tbEUlT_E0_NS1_11comp_targetILNS1_3genE10ELNS1_11target_archE1201ELNS1_3gpuE5ELNS1_3repE0EEENS1_30default_config_static_selectorELNS0_4arch9wavefront6targetE0EEEvSF_
    .private_segment_fixed_size: 0
    .sgpr_count:     0
    .sgpr_spill_count: 0
    .symbol:         _ZN7rocprim17ROCPRIM_400000_NS6detail17trampoline_kernelINS0_14default_configENS1_22reduce_config_selectorImEEZNS1_11reduce_implILb1ES3_PmS7_mN6thrust23THRUST_200600_302600_NS4plusImEEEE10hipError_tPvRmT1_T2_T3_mT4_P12ihipStream_tbEUlT_E0_NS1_11comp_targetILNS1_3genE10ELNS1_11target_archE1201ELNS1_3gpuE5ELNS1_3repE0EEENS1_30default_config_static_selectorELNS0_4arch9wavefront6targetE0EEEvSF_.kd
    .uniform_work_group_size: 1
    .uses_dynamic_stack: false
    .vgpr_count:     0
    .vgpr_spill_count: 0
    .wavefront_size: 32
    .workgroup_processor_mode: 1
  - .args:
      - .offset:         0
        .size:           64
        .value_kind:     by_value
    .group_segment_fixed_size: 0
    .kernarg_segment_align: 8
    .kernarg_segment_size: 64
    .language:       OpenCL C
    .language_version:
      - 2
      - 0
    .max_flat_workgroup_size: 256
    .name:           _ZN7rocprim17ROCPRIM_400000_NS6detail17trampoline_kernelINS0_14default_configENS1_22reduce_config_selectorImEEZNS1_11reduce_implILb1ES3_PmS7_mN6thrust23THRUST_200600_302600_NS4plusImEEEE10hipError_tPvRmT1_T2_T3_mT4_P12ihipStream_tbEUlT_E0_NS1_11comp_targetILNS1_3genE10ELNS1_11target_archE1200ELNS1_3gpuE4ELNS1_3repE0EEENS1_30default_config_static_selectorELNS0_4arch9wavefront6targetE0EEEvSF_
    .private_segment_fixed_size: 0
    .sgpr_count:     0
    .sgpr_spill_count: 0
    .symbol:         _ZN7rocprim17ROCPRIM_400000_NS6detail17trampoline_kernelINS0_14default_configENS1_22reduce_config_selectorImEEZNS1_11reduce_implILb1ES3_PmS7_mN6thrust23THRUST_200600_302600_NS4plusImEEEE10hipError_tPvRmT1_T2_T3_mT4_P12ihipStream_tbEUlT_E0_NS1_11comp_targetILNS1_3genE10ELNS1_11target_archE1200ELNS1_3gpuE4ELNS1_3repE0EEENS1_30default_config_static_selectorELNS0_4arch9wavefront6targetE0EEEvSF_.kd
    .uniform_work_group_size: 1
    .uses_dynamic_stack: false
    .vgpr_count:     0
    .vgpr_spill_count: 0
    .wavefront_size: 32
    .workgroup_processor_mode: 1
  - .args:
      - .offset:         0
        .size:           64
        .value_kind:     by_value
    .group_segment_fixed_size: 0
    .kernarg_segment_align: 8
    .kernarg_segment_size: 64
    .language:       OpenCL C
    .language_version:
      - 2
      - 0
    .max_flat_workgroup_size: 256
    .name:           _ZN7rocprim17ROCPRIM_400000_NS6detail17trampoline_kernelINS0_14default_configENS1_22reduce_config_selectorImEEZNS1_11reduce_implILb1ES3_PmS7_mN6thrust23THRUST_200600_302600_NS4plusImEEEE10hipError_tPvRmT1_T2_T3_mT4_P12ihipStream_tbEUlT_E0_NS1_11comp_targetILNS1_3genE9ELNS1_11target_archE1100ELNS1_3gpuE3ELNS1_3repE0EEENS1_30default_config_static_selectorELNS0_4arch9wavefront6targetE0EEEvSF_
    .private_segment_fixed_size: 0
    .sgpr_count:     0
    .sgpr_spill_count: 0
    .symbol:         _ZN7rocprim17ROCPRIM_400000_NS6detail17trampoline_kernelINS0_14default_configENS1_22reduce_config_selectorImEEZNS1_11reduce_implILb1ES3_PmS7_mN6thrust23THRUST_200600_302600_NS4plusImEEEE10hipError_tPvRmT1_T2_T3_mT4_P12ihipStream_tbEUlT_E0_NS1_11comp_targetILNS1_3genE9ELNS1_11target_archE1100ELNS1_3gpuE3ELNS1_3repE0EEENS1_30default_config_static_selectorELNS0_4arch9wavefront6targetE0EEEvSF_.kd
    .uniform_work_group_size: 1
    .uses_dynamic_stack: false
    .vgpr_count:     0
    .vgpr_spill_count: 0
    .wavefront_size: 32
    .workgroup_processor_mode: 1
  - .args:
      - .offset:         0
        .size:           64
        .value_kind:     by_value
    .group_segment_fixed_size: 128
    .kernarg_segment_align: 8
    .kernarg_segment_size: 64
    .language:       OpenCL C
    .language_version:
      - 2
      - 0
    .max_flat_workgroup_size: 256
    .name:           _ZN7rocprim17ROCPRIM_400000_NS6detail17trampoline_kernelINS0_14default_configENS1_22reduce_config_selectorImEEZNS1_11reduce_implILb1ES3_PmS7_mN6thrust23THRUST_200600_302600_NS4plusImEEEE10hipError_tPvRmT1_T2_T3_mT4_P12ihipStream_tbEUlT_E0_NS1_11comp_targetILNS1_3genE8ELNS1_11target_archE1030ELNS1_3gpuE2ELNS1_3repE0EEENS1_30default_config_static_selectorELNS0_4arch9wavefront6targetE0EEEvSF_
    .private_segment_fixed_size: 0
    .sgpr_count:     20
    .sgpr_spill_count: 0
    .symbol:         _ZN7rocprim17ROCPRIM_400000_NS6detail17trampoline_kernelINS0_14default_configENS1_22reduce_config_selectorImEEZNS1_11reduce_implILb1ES3_PmS7_mN6thrust23THRUST_200600_302600_NS4plusImEEEE10hipError_tPvRmT1_T2_T3_mT4_P12ihipStream_tbEUlT_E0_NS1_11comp_targetILNS1_3genE8ELNS1_11target_archE1030ELNS1_3gpuE2ELNS1_3repE0EEENS1_30default_config_static_selectorELNS0_4arch9wavefront6targetE0EEEvSF_.kd
    .uniform_work_group_size: 1
    .uses_dynamic_stack: false
    .vgpr_count:     9
    .vgpr_spill_count: 0
    .wavefront_size: 32
    .workgroup_processor_mode: 1
  - .args:
      - .offset:         0
        .size:           48
        .value_kind:     by_value
    .group_segment_fixed_size: 0
    .kernarg_segment_align: 8
    .kernarg_segment_size: 48
    .language:       OpenCL C
    .language_version:
      - 2
      - 0
    .max_flat_workgroup_size: 256
    .name:           _ZN7rocprim17ROCPRIM_400000_NS6detail17trampoline_kernelINS0_14default_configENS1_22reduce_config_selectorImEEZNS1_11reduce_implILb1ES3_PmS7_mN6thrust23THRUST_200600_302600_NS4plusImEEEE10hipError_tPvRmT1_T2_T3_mT4_P12ihipStream_tbEUlT_E1_NS1_11comp_targetILNS1_3genE0ELNS1_11target_archE4294967295ELNS1_3gpuE0ELNS1_3repE0EEENS1_30default_config_static_selectorELNS0_4arch9wavefront6targetE0EEEvSF_
    .private_segment_fixed_size: 0
    .sgpr_count:     0
    .sgpr_spill_count: 0
    .symbol:         _ZN7rocprim17ROCPRIM_400000_NS6detail17trampoline_kernelINS0_14default_configENS1_22reduce_config_selectorImEEZNS1_11reduce_implILb1ES3_PmS7_mN6thrust23THRUST_200600_302600_NS4plusImEEEE10hipError_tPvRmT1_T2_T3_mT4_P12ihipStream_tbEUlT_E1_NS1_11comp_targetILNS1_3genE0ELNS1_11target_archE4294967295ELNS1_3gpuE0ELNS1_3repE0EEENS1_30default_config_static_selectorELNS0_4arch9wavefront6targetE0EEEvSF_.kd
    .uniform_work_group_size: 1
    .uses_dynamic_stack: false
    .vgpr_count:     0
    .vgpr_spill_count: 0
    .wavefront_size: 32
    .workgroup_processor_mode: 1
  - .args:
      - .offset:         0
        .size:           48
        .value_kind:     by_value
    .group_segment_fixed_size: 0
    .kernarg_segment_align: 8
    .kernarg_segment_size: 48
    .language:       OpenCL C
    .language_version:
      - 2
      - 0
    .max_flat_workgroup_size: 256
    .name:           _ZN7rocprim17ROCPRIM_400000_NS6detail17trampoline_kernelINS0_14default_configENS1_22reduce_config_selectorImEEZNS1_11reduce_implILb1ES3_PmS7_mN6thrust23THRUST_200600_302600_NS4plusImEEEE10hipError_tPvRmT1_T2_T3_mT4_P12ihipStream_tbEUlT_E1_NS1_11comp_targetILNS1_3genE5ELNS1_11target_archE942ELNS1_3gpuE9ELNS1_3repE0EEENS1_30default_config_static_selectorELNS0_4arch9wavefront6targetE0EEEvSF_
    .private_segment_fixed_size: 0
    .sgpr_count:     0
    .sgpr_spill_count: 0
    .symbol:         _ZN7rocprim17ROCPRIM_400000_NS6detail17trampoline_kernelINS0_14default_configENS1_22reduce_config_selectorImEEZNS1_11reduce_implILb1ES3_PmS7_mN6thrust23THRUST_200600_302600_NS4plusImEEEE10hipError_tPvRmT1_T2_T3_mT4_P12ihipStream_tbEUlT_E1_NS1_11comp_targetILNS1_3genE5ELNS1_11target_archE942ELNS1_3gpuE9ELNS1_3repE0EEENS1_30default_config_static_selectorELNS0_4arch9wavefront6targetE0EEEvSF_.kd
    .uniform_work_group_size: 1
    .uses_dynamic_stack: false
    .vgpr_count:     0
    .vgpr_spill_count: 0
    .wavefront_size: 32
    .workgroup_processor_mode: 1
  - .args:
      - .offset:         0
        .size:           48
        .value_kind:     by_value
    .group_segment_fixed_size: 0
    .kernarg_segment_align: 8
    .kernarg_segment_size: 48
    .language:       OpenCL C
    .language_version:
      - 2
      - 0
    .max_flat_workgroup_size: 256
    .name:           _ZN7rocprim17ROCPRIM_400000_NS6detail17trampoline_kernelINS0_14default_configENS1_22reduce_config_selectorImEEZNS1_11reduce_implILb1ES3_PmS7_mN6thrust23THRUST_200600_302600_NS4plusImEEEE10hipError_tPvRmT1_T2_T3_mT4_P12ihipStream_tbEUlT_E1_NS1_11comp_targetILNS1_3genE4ELNS1_11target_archE910ELNS1_3gpuE8ELNS1_3repE0EEENS1_30default_config_static_selectorELNS0_4arch9wavefront6targetE0EEEvSF_
    .private_segment_fixed_size: 0
    .sgpr_count:     0
    .sgpr_spill_count: 0
    .symbol:         _ZN7rocprim17ROCPRIM_400000_NS6detail17trampoline_kernelINS0_14default_configENS1_22reduce_config_selectorImEEZNS1_11reduce_implILb1ES3_PmS7_mN6thrust23THRUST_200600_302600_NS4plusImEEEE10hipError_tPvRmT1_T2_T3_mT4_P12ihipStream_tbEUlT_E1_NS1_11comp_targetILNS1_3genE4ELNS1_11target_archE910ELNS1_3gpuE8ELNS1_3repE0EEENS1_30default_config_static_selectorELNS0_4arch9wavefront6targetE0EEEvSF_.kd
    .uniform_work_group_size: 1
    .uses_dynamic_stack: false
    .vgpr_count:     0
    .vgpr_spill_count: 0
    .wavefront_size: 32
    .workgroup_processor_mode: 1
  - .args:
      - .offset:         0
        .size:           48
        .value_kind:     by_value
    .group_segment_fixed_size: 0
    .kernarg_segment_align: 8
    .kernarg_segment_size: 48
    .language:       OpenCL C
    .language_version:
      - 2
      - 0
    .max_flat_workgroup_size: 256
    .name:           _ZN7rocprim17ROCPRIM_400000_NS6detail17trampoline_kernelINS0_14default_configENS1_22reduce_config_selectorImEEZNS1_11reduce_implILb1ES3_PmS7_mN6thrust23THRUST_200600_302600_NS4plusImEEEE10hipError_tPvRmT1_T2_T3_mT4_P12ihipStream_tbEUlT_E1_NS1_11comp_targetILNS1_3genE3ELNS1_11target_archE908ELNS1_3gpuE7ELNS1_3repE0EEENS1_30default_config_static_selectorELNS0_4arch9wavefront6targetE0EEEvSF_
    .private_segment_fixed_size: 0
    .sgpr_count:     0
    .sgpr_spill_count: 0
    .symbol:         _ZN7rocprim17ROCPRIM_400000_NS6detail17trampoline_kernelINS0_14default_configENS1_22reduce_config_selectorImEEZNS1_11reduce_implILb1ES3_PmS7_mN6thrust23THRUST_200600_302600_NS4plusImEEEE10hipError_tPvRmT1_T2_T3_mT4_P12ihipStream_tbEUlT_E1_NS1_11comp_targetILNS1_3genE3ELNS1_11target_archE908ELNS1_3gpuE7ELNS1_3repE0EEENS1_30default_config_static_selectorELNS0_4arch9wavefront6targetE0EEEvSF_.kd
    .uniform_work_group_size: 1
    .uses_dynamic_stack: false
    .vgpr_count:     0
    .vgpr_spill_count: 0
    .wavefront_size: 32
    .workgroup_processor_mode: 1
  - .args:
      - .offset:         0
        .size:           48
        .value_kind:     by_value
    .group_segment_fixed_size: 0
    .kernarg_segment_align: 8
    .kernarg_segment_size: 48
    .language:       OpenCL C
    .language_version:
      - 2
      - 0
    .max_flat_workgroup_size: 256
    .name:           _ZN7rocprim17ROCPRIM_400000_NS6detail17trampoline_kernelINS0_14default_configENS1_22reduce_config_selectorImEEZNS1_11reduce_implILb1ES3_PmS7_mN6thrust23THRUST_200600_302600_NS4plusImEEEE10hipError_tPvRmT1_T2_T3_mT4_P12ihipStream_tbEUlT_E1_NS1_11comp_targetILNS1_3genE2ELNS1_11target_archE906ELNS1_3gpuE6ELNS1_3repE0EEENS1_30default_config_static_selectorELNS0_4arch9wavefront6targetE0EEEvSF_
    .private_segment_fixed_size: 0
    .sgpr_count:     0
    .sgpr_spill_count: 0
    .symbol:         _ZN7rocprim17ROCPRIM_400000_NS6detail17trampoline_kernelINS0_14default_configENS1_22reduce_config_selectorImEEZNS1_11reduce_implILb1ES3_PmS7_mN6thrust23THRUST_200600_302600_NS4plusImEEEE10hipError_tPvRmT1_T2_T3_mT4_P12ihipStream_tbEUlT_E1_NS1_11comp_targetILNS1_3genE2ELNS1_11target_archE906ELNS1_3gpuE6ELNS1_3repE0EEENS1_30default_config_static_selectorELNS0_4arch9wavefront6targetE0EEEvSF_.kd
    .uniform_work_group_size: 1
    .uses_dynamic_stack: false
    .vgpr_count:     0
    .vgpr_spill_count: 0
    .wavefront_size: 32
    .workgroup_processor_mode: 1
  - .args:
      - .offset:         0
        .size:           48
        .value_kind:     by_value
    .group_segment_fixed_size: 0
    .kernarg_segment_align: 8
    .kernarg_segment_size: 48
    .language:       OpenCL C
    .language_version:
      - 2
      - 0
    .max_flat_workgroup_size: 256
    .name:           _ZN7rocprim17ROCPRIM_400000_NS6detail17trampoline_kernelINS0_14default_configENS1_22reduce_config_selectorImEEZNS1_11reduce_implILb1ES3_PmS7_mN6thrust23THRUST_200600_302600_NS4plusImEEEE10hipError_tPvRmT1_T2_T3_mT4_P12ihipStream_tbEUlT_E1_NS1_11comp_targetILNS1_3genE10ELNS1_11target_archE1201ELNS1_3gpuE5ELNS1_3repE0EEENS1_30default_config_static_selectorELNS0_4arch9wavefront6targetE0EEEvSF_
    .private_segment_fixed_size: 0
    .sgpr_count:     0
    .sgpr_spill_count: 0
    .symbol:         _ZN7rocprim17ROCPRIM_400000_NS6detail17trampoline_kernelINS0_14default_configENS1_22reduce_config_selectorImEEZNS1_11reduce_implILb1ES3_PmS7_mN6thrust23THRUST_200600_302600_NS4plusImEEEE10hipError_tPvRmT1_T2_T3_mT4_P12ihipStream_tbEUlT_E1_NS1_11comp_targetILNS1_3genE10ELNS1_11target_archE1201ELNS1_3gpuE5ELNS1_3repE0EEENS1_30default_config_static_selectorELNS0_4arch9wavefront6targetE0EEEvSF_.kd
    .uniform_work_group_size: 1
    .uses_dynamic_stack: false
    .vgpr_count:     0
    .vgpr_spill_count: 0
    .wavefront_size: 32
    .workgroup_processor_mode: 1
  - .args:
      - .offset:         0
        .size:           48
        .value_kind:     by_value
    .group_segment_fixed_size: 0
    .kernarg_segment_align: 8
    .kernarg_segment_size: 48
    .language:       OpenCL C
    .language_version:
      - 2
      - 0
    .max_flat_workgroup_size: 256
    .name:           _ZN7rocprim17ROCPRIM_400000_NS6detail17trampoline_kernelINS0_14default_configENS1_22reduce_config_selectorImEEZNS1_11reduce_implILb1ES3_PmS7_mN6thrust23THRUST_200600_302600_NS4plusImEEEE10hipError_tPvRmT1_T2_T3_mT4_P12ihipStream_tbEUlT_E1_NS1_11comp_targetILNS1_3genE10ELNS1_11target_archE1200ELNS1_3gpuE4ELNS1_3repE0EEENS1_30default_config_static_selectorELNS0_4arch9wavefront6targetE0EEEvSF_
    .private_segment_fixed_size: 0
    .sgpr_count:     0
    .sgpr_spill_count: 0
    .symbol:         _ZN7rocprim17ROCPRIM_400000_NS6detail17trampoline_kernelINS0_14default_configENS1_22reduce_config_selectorImEEZNS1_11reduce_implILb1ES3_PmS7_mN6thrust23THRUST_200600_302600_NS4plusImEEEE10hipError_tPvRmT1_T2_T3_mT4_P12ihipStream_tbEUlT_E1_NS1_11comp_targetILNS1_3genE10ELNS1_11target_archE1200ELNS1_3gpuE4ELNS1_3repE0EEENS1_30default_config_static_selectorELNS0_4arch9wavefront6targetE0EEEvSF_.kd
    .uniform_work_group_size: 1
    .uses_dynamic_stack: false
    .vgpr_count:     0
    .vgpr_spill_count: 0
    .wavefront_size: 32
    .workgroup_processor_mode: 1
  - .args:
      - .offset:         0
        .size:           48
        .value_kind:     by_value
    .group_segment_fixed_size: 0
    .kernarg_segment_align: 8
    .kernarg_segment_size: 48
    .language:       OpenCL C
    .language_version:
      - 2
      - 0
    .max_flat_workgroup_size: 256
    .name:           _ZN7rocprim17ROCPRIM_400000_NS6detail17trampoline_kernelINS0_14default_configENS1_22reduce_config_selectorImEEZNS1_11reduce_implILb1ES3_PmS7_mN6thrust23THRUST_200600_302600_NS4plusImEEEE10hipError_tPvRmT1_T2_T3_mT4_P12ihipStream_tbEUlT_E1_NS1_11comp_targetILNS1_3genE9ELNS1_11target_archE1100ELNS1_3gpuE3ELNS1_3repE0EEENS1_30default_config_static_selectorELNS0_4arch9wavefront6targetE0EEEvSF_
    .private_segment_fixed_size: 0
    .sgpr_count:     0
    .sgpr_spill_count: 0
    .symbol:         _ZN7rocprim17ROCPRIM_400000_NS6detail17trampoline_kernelINS0_14default_configENS1_22reduce_config_selectorImEEZNS1_11reduce_implILb1ES3_PmS7_mN6thrust23THRUST_200600_302600_NS4plusImEEEE10hipError_tPvRmT1_T2_T3_mT4_P12ihipStream_tbEUlT_E1_NS1_11comp_targetILNS1_3genE9ELNS1_11target_archE1100ELNS1_3gpuE3ELNS1_3repE0EEENS1_30default_config_static_selectorELNS0_4arch9wavefront6targetE0EEEvSF_.kd
    .uniform_work_group_size: 1
    .uses_dynamic_stack: false
    .vgpr_count:     0
    .vgpr_spill_count: 0
    .wavefront_size: 32
    .workgroup_processor_mode: 1
  - .args:
      - .offset:         0
        .size:           48
        .value_kind:     by_value
    .group_segment_fixed_size: 384
    .kernarg_segment_align: 8
    .kernarg_segment_size: 48
    .language:       OpenCL C
    .language_version:
      - 2
      - 0
    .max_flat_workgroup_size: 256
    .name:           _ZN7rocprim17ROCPRIM_400000_NS6detail17trampoline_kernelINS0_14default_configENS1_22reduce_config_selectorImEEZNS1_11reduce_implILb1ES3_PmS7_mN6thrust23THRUST_200600_302600_NS4plusImEEEE10hipError_tPvRmT1_T2_T3_mT4_P12ihipStream_tbEUlT_E1_NS1_11comp_targetILNS1_3genE8ELNS1_11target_archE1030ELNS1_3gpuE2ELNS1_3repE0EEENS1_30default_config_static_selectorELNS0_4arch9wavefront6targetE0EEEvSF_
    .private_segment_fixed_size: 0
    .sgpr_count:     32
    .sgpr_spill_count: 0
    .symbol:         _ZN7rocprim17ROCPRIM_400000_NS6detail17trampoline_kernelINS0_14default_configENS1_22reduce_config_selectorImEEZNS1_11reduce_implILb1ES3_PmS7_mN6thrust23THRUST_200600_302600_NS4plusImEEEE10hipError_tPvRmT1_T2_T3_mT4_P12ihipStream_tbEUlT_E1_NS1_11comp_targetILNS1_3genE8ELNS1_11target_archE1030ELNS1_3gpuE2ELNS1_3repE0EEENS1_30default_config_static_selectorELNS0_4arch9wavefront6targetE0EEEvSF_.kd
    .uniform_work_group_size: 1
    .uses_dynamic_stack: false
    .vgpr_count:     34
    .vgpr_spill_count: 0
    .wavefront_size: 32
    .workgroup_processor_mode: 1
  - .args:
      - .offset:         0
        .size:           80
        .value_kind:     by_value
    .group_segment_fixed_size: 0
    .kernarg_segment_align: 8
    .kernarg_segment_size: 80
    .language:       OpenCL C
    .language_version:
      - 2
      - 0
    .max_flat_workgroup_size: 256
    .name:           _ZN7rocprim17ROCPRIM_400000_NS6detail17trampoline_kernelINS0_14default_configENS1_22reduce_config_selectorImEEZNS1_11reduce_implILb1ES3_N6thrust23THRUST_200600_302600_NS11hip_rocprim35transform_pair_of_input_iterators_tImNS8_6detail15normal_iteratorINS8_10device_ptrIiEEEESF_NS8_12not_equal_toIiEEEEPmmNS8_4plusImEEEE10hipError_tPvRmT1_T2_T3_mT4_P12ihipStream_tbEUlT_E0_NS1_11comp_targetILNS1_3genE0ELNS1_11target_archE4294967295ELNS1_3gpuE0ELNS1_3repE0EEENS1_30default_config_static_selectorELNS0_4arch9wavefront6targetE0EEEvSP_
    .private_segment_fixed_size: 0
    .sgpr_count:     0
    .sgpr_spill_count: 0
    .symbol:         _ZN7rocprim17ROCPRIM_400000_NS6detail17trampoline_kernelINS0_14default_configENS1_22reduce_config_selectorImEEZNS1_11reduce_implILb1ES3_N6thrust23THRUST_200600_302600_NS11hip_rocprim35transform_pair_of_input_iterators_tImNS8_6detail15normal_iteratorINS8_10device_ptrIiEEEESF_NS8_12not_equal_toIiEEEEPmmNS8_4plusImEEEE10hipError_tPvRmT1_T2_T3_mT4_P12ihipStream_tbEUlT_E0_NS1_11comp_targetILNS1_3genE0ELNS1_11target_archE4294967295ELNS1_3gpuE0ELNS1_3repE0EEENS1_30default_config_static_selectorELNS0_4arch9wavefront6targetE0EEEvSP_.kd
    .uniform_work_group_size: 1
    .uses_dynamic_stack: false
    .vgpr_count:     0
    .vgpr_spill_count: 0
    .wavefront_size: 32
    .workgroup_processor_mode: 1
  - .args:
      - .offset:         0
        .size:           80
        .value_kind:     by_value
    .group_segment_fixed_size: 0
    .kernarg_segment_align: 8
    .kernarg_segment_size: 80
    .language:       OpenCL C
    .language_version:
      - 2
      - 0
    .max_flat_workgroup_size: 256
    .name:           _ZN7rocprim17ROCPRIM_400000_NS6detail17trampoline_kernelINS0_14default_configENS1_22reduce_config_selectorImEEZNS1_11reduce_implILb1ES3_N6thrust23THRUST_200600_302600_NS11hip_rocprim35transform_pair_of_input_iterators_tImNS8_6detail15normal_iteratorINS8_10device_ptrIiEEEESF_NS8_12not_equal_toIiEEEEPmmNS8_4plusImEEEE10hipError_tPvRmT1_T2_T3_mT4_P12ihipStream_tbEUlT_E0_NS1_11comp_targetILNS1_3genE5ELNS1_11target_archE942ELNS1_3gpuE9ELNS1_3repE0EEENS1_30default_config_static_selectorELNS0_4arch9wavefront6targetE0EEEvSP_
    .private_segment_fixed_size: 0
    .sgpr_count:     0
    .sgpr_spill_count: 0
    .symbol:         _ZN7rocprim17ROCPRIM_400000_NS6detail17trampoline_kernelINS0_14default_configENS1_22reduce_config_selectorImEEZNS1_11reduce_implILb1ES3_N6thrust23THRUST_200600_302600_NS11hip_rocprim35transform_pair_of_input_iterators_tImNS8_6detail15normal_iteratorINS8_10device_ptrIiEEEESF_NS8_12not_equal_toIiEEEEPmmNS8_4plusImEEEE10hipError_tPvRmT1_T2_T3_mT4_P12ihipStream_tbEUlT_E0_NS1_11comp_targetILNS1_3genE5ELNS1_11target_archE942ELNS1_3gpuE9ELNS1_3repE0EEENS1_30default_config_static_selectorELNS0_4arch9wavefront6targetE0EEEvSP_.kd
    .uniform_work_group_size: 1
    .uses_dynamic_stack: false
    .vgpr_count:     0
    .vgpr_spill_count: 0
    .wavefront_size: 32
    .workgroup_processor_mode: 1
  - .args:
      - .offset:         0
        .size:           80
        .value_kind:     by_value
    .group_segment_fixed_size: 0
    .kernarg_segment_align: 8
    .kernarg_segment_size: 80
    .language:       OpenCL C
    .language_version:
      - 2
      - 0
    .max_flat_workgroup_size: 256
    .name:           _ZN7rocprim17ROCPRIM_400000_NS6detail17trampoline_kernelINS0_14default_configENS1_22reduce_config_selectorImEEZNS1_11reduce_implILb1ES3_N6thrust23THRUST_200600_302600_NS11hip_rocprim35transform_pair_of_input_iterators_tImNS8_6detail15normal_iteratorINS8_10device_ptrIiEEEESF_NS8_12not_equal_toIiEEEEPmmNS8_4plusImEEEE10hipError_tPvRmT1_T2_T3_mT4_P12ihipStream_tbEUlT_E0_NS1_11comp_targetILNS1_3genE4ELNS1_11target_archE910ELNS1_3gpuE8ELNS1_3repE0EEENS1_30default_config_static_selectorELNS0_4arch9wavefront6targetE0EEEvSP_
    .private_segment_fixed_size: 0
    .sgpr_count:     0
    .sgpr_spill_count: 0
    .symbol:         _ZN7rocprim17ROCPRIM_400000_NS6detail17trampoline_kernelINS0_14default_configENS1_22reduce_config_selectorImEEZNS1_11reduce_implILb1ES3_N6thrust23THRUST_200600_302600_NS11hip_rocprim35transform_pair_of_input_iterators_tImNS8_6detail15normal_iteratorINS8_10device_ptrIiEEEESF_NS8_12not_equal_toIiEEEEPmmNS8_4plusImEEEE10hipError_tPvRmT1_T2_T3_mT4_P12ihipStream_tbEUlT_E0_NS1_11comp_targetILNS1_3genE4ELNS1_11target_archE910ELNS1_3gpuE8ELNS1_3repE0EEENS1_30default_config_static_selectorELNS0_4arch9wavefront6targetE0EEEvSP_.kd
    .uniform_work_group_size: 1
    .uses_dynamic_stack: false
    .vgpr_count:     0
    .vgpr_spill_count: 0
    .wavefront_size: 32
    .workgroup_processor_mode: 1
  - .args:
      - .offset:         0
        .size:           80
        .value_kind:     by_value
    .group_segment_fixed_size: 0
    .kernarg_segment_align: 8
    .kernarg_segment_size: 80
    .language:       OpenCL C
    .language_version:
      - 2
      - 0
    .max_flat_workgroup_size: 256
    .name:           _ZN7rocprim17ROCPRIM_400000_NS6detail17trampoline_kernelINS0_14default_configENS1_22reduce_config_selectorImEEZNS1_11reduce_implILb1ES3_N6thrust23THRUST_200600_302600_NS11hip_rocprim35transform_pair_of_input_iterators_tImNS8_6detail15normal_iteratorINS8_10device_ptrIiEEEESF_NS8_12not_equal_toIiEEEEPmmNS8_4plusImEEEE10hipError_tPvRmT1_T2_T3_mT4_P12ihipStream_tbEUlT_E0_NS1_11comp_targetILNS1_3genE3ELNS1_11target_archE908ELNS1_3gpuE7ELNS1_3repE0EEENS1_30default_config_static_selectorELNS0_4arch9wavefront6targetE0EEEvSP_
    .private_segment_fixed_size: 0
    .sgpr_count:     0
    .sgpr_spill_count: 0
    .symbol:         _ZN7rocprim17ROCPRIM_400000_NS6detail17trampoline_kernelINS0_14default_configENS1_22reduce_config_selectorImEEZNS1_11reduce_implILb1ES3_N6thrust23THRUST_200600_302600_NS11hip_rocprim35transform_pair_of_input_iterators_tImNS8_6detail15normal_iteratorINS8_10device_ptrIiEEEESF_NS8_12not_equal_toIiEEEEPmmNS8_4plusImEEEE10hipError_tPvRmT1_T2_T3_mT4_P12ihipStream_tbEUlT_E0_NS1_11comp_targetILNS1_3genE3ELNS1_11target_archE908ELNS1_3gpuE7ELNS1_3repE0EEENS1_30default_config_static_selectorELNS0_4arch9wavefront6targetE0EEEvSP_.kd
    .uniform_work_group_size: 1
    .uses_dynamic_stack: false
    .vgpr_count:     0
    .vgpr_spill_count: 0
    .wavefront_size: 32
    .workgroup_processor_mode: 1
  - .args:
      - .offset:         0
        .size:           80
        .value_kind:     by_value
    .group_segment_fixed_size: 0
    .kernarg_segment_align: 8
    .kernarg_segment_size: 80
    .language:       OpenCL C
    .language_version:
      - 2
      - 0
    .max_flat_workgroup_size: 256
    .name:           _ZN7rocprim17ROCPRIM_400000_NS6detail17trampoline_kernelINS0_14default_configENS1_22reduce_config_selectorImEEZNS1_11reduce_implILb1ES3_N6thrust23THRUST_200600_302600_NS11hip_rocprim35transform_pair_of_input_iterators_tImNS8_6detail15normal_iteratorINS8_10device_ptrIiEEEESF_NS8_12not_equal_toIiEEEEPmmNS8_4plusImEEEE10hipError_tPvRmT1_T2_T3_mT4_P12ihipStream_tbEUlT_E0_NS1_11comp_targetILNS1_3genE2ELNS1_11target_archE906ELNS1_3gpuE6ELNS1_3repE0EEENS1_30default_config_static_selectorELNS0_4arch9wavefront6targetE0EEEvSP_
    .private_segment_fixed_size: 0
    .sgpr_count:     0
    .sgpr_spill_count: 0
    .symbol:         _ZN7rocprim17ROCPRIM_400000_NS6detail17trampoline_kernelINS0_14default_configENS1_22reduce_config_selectorImEEZNS1_11reduce_implILb1ES3_N6thrust23THRUST_200600_302600_NS11hip_rocprim35transform_pair_of_input_iterators_tImNS8_6detail15normal_iteratorINS8_10device_ptrIiEEEESF_NS8_12not_equal_toIiEEEEPmmNS8_4plusImEEEE10hipError_tPvRmT1_T2_T3_mT4_P12ihipStream_tbEUlT_E0_NS1_11comp_targetILNS1_3genE2ELNS1_11target_archE906ELNS1_3gpuE6ELNS1_3repE0EEENS1_30default_config_static_selectorELNS0_4arch9wavefront6targetE0EEEvSP_.kd
    .uniform_work_group_size: 1
    .uses_dynamic_stack: false
    .vgpr_count:     0
    .vgpr_spill_count: 0
    .wavefront_size: 32
    .workgroup_processor_mode: 1
  - .args:
      - .offset:         0
        .size:           80
        .value_kind:     by_value
    .group_segment_fixed_size: 0
    .kernarg_segment_align: 8
    .kernarg_segment_size: 80
    .language:       OpenCL C
    .language_version:
      - 2
      - 0
    .max_flat_workgroup_size: 256
    .name:           _ZN7rocprim17ROCPRIM_400000_NS6detail17trampoline_kernelINS0_14default_configENS1_22reduce_config_selectorImEEZNS1_11reduce_implILb1ES3_N6thrust23THRUST_200600_302600_NS11hip_rocprim35transform_pair_of_input_iterators_tImNS8_6detail15normal_iteratorINS8_10device_ptrIiEEEESF_NS8_12not_equal_toIiEEEEPmmNS8_4plusImEEEE10hipError_tPvRmT1_T2_T3_mT4_P12ihipStream_tbEUlT_E0_NS1_11comp_targetILNS1_3genE10ELNS1_11target_archE1201ELNS1_3gpuE5ELNS1_3repE0EEENS1_30default_config_static_selectorELNS0_4arch9wavefront6targetE0EEEvSP_
    .private_segment_fixed_size: 0
    .sgpr_count:     0
    .sgpr_spill_count: 0
    .symbol:         _ZN7rocprim17ROCPRIM_400000_NS6detail17trampoline_kernelINS0_14default_configENS1_22reduce_config_selectorImEEZNS1_11reduce_implILb1ES3_N6thrust23THRUST_200600_302600_NS11hip_rocprim35transform_pair_of_input_iterators_tImNS8_6detail15normal_iteratorINS8_10device_ptrIiEEEESF_NS8_12not_equal_toIiEEEEPmmNS8_4plusImEEEE10hipError_tPvRmT1_T2_T3_mT4_P12ihipStream_tbEUlT_E0_NS1_11comp_targetILNS1_3genE10ELNS1_11target_archE1201ELNS1_3gpuE5ELNS1_3repE0EEENS1_30default_config_static_selectorELNS0_4arch9wavefront6targetE0EEEvSP_.kd
    .uniform_work_group_size: 1
    .uses_dynamic_stack: false
    .vgpr_count:     0
    .vgpr_spill_count: 0
    .wavefront_size: 32
    .workgroup_processor_mode: 1
  - .args:
      - .offset:         0
        .size:           80
        .value_kind:     by_value
    .group_segment_fixed_size: 0
    .kernarg_segment_align: 8
    .kernarg_segment_size: 80
    .language:       OpenCL C
    .language_version:
      - 2
      - 0
    .max_flat_workgroup_size: 256
    .name:           _ZN7rocprim17ROCPRIM_400000_NS6detail17trampoline_kernelINS0_14default_configENS1_22reduce_config_selectorImEEZNS1_11reduce_implILb1ES3_N6thrust23THRUST_200600_302600_NS11hip_rocprim35transform_pair_of_input_iterators_tImNS8_6detail15normal_iteratorINS8_10device_ptrIiEEEESF_NS8_12not_equal_toIiEEEEPmmNS8_4plusImEEEE10hipError_tPvRmT1_T2_T3_mT4_P12ihipStream_tbEUlT_E0_NS1_11comp_targetILNS1_3genE10ELNS1_11target_archE1200ELNS1_3gpuE4ELNS1_3repE0EEENS1_30default_config_static_selectorELNS0_4arch9wavefront6targetE0EEEvSP_
    .private_segment_fixed_size: 0
    .sgpr_count:     0
    .sgpr_spill_count: 0
    .symbol:         _ZN7rocprim17ROCPRIM_400000_NS6detail17trampoline_kernelINS0_14default_configENS1_22reduce_config_selectorImEEZNS1_11reduce_implILb1ES3_N6thrust23THRUST_200600_302600_NS11hip_rocprim35transform_pair_of_input_iterators_tImNS8_6detail15normal_iteratorINS8_10device_ptrIiEEEESF_NS8_12not_equal_toIiEEEEPmmNS8_4plusImEEEE10hipError_tPvRmT1_T2_T3_mT4_P12ihipStream_tbEUlT_E0_NS1_11comp_targetILNS1_3genE10ELNS1_11target_archE1200ELNS1_3gpuE4ELNS1_3repE0EEENS1_30default_config_static_selectorELNS0_4arch9wavefront6targetE0EEEvSP_.kd
    .uniform_work_group_size: 1
    .uses_dynamic_stack: false
    .vgpr_count:     0
    .vgpr_spill_count: 0
    .wavefront_size: 32
    .workgroup_processor_mode: 1
  - .args:
      - .offset:         0
        .size:           80
        .value_kind:     by_value
    .group_segment_fixed_size: 0
    .kernarg_segment_align: 8
    .kernarg_segment_size: 80
    .language:       OpenCL C
    .language_version:
      - 2
      - 0
    .max_flat_workgroup_size: 256
    .name:           _ZN7rocprim17ROCPRIM_400000_NS6detail17trampoline_kernelINS0_14default_configENS1_22reduce_config_selectorImEEZNS1_11reduce_implILb1ES3_N6thrust23THRUST_200600_302600_NS11hip_rocprim35transform_pair_of_input_iterators_tImNS8_6detail15normal_iteratorINS8_10device_ptrIiEEEESF_NS8_12not_equal_toIiEEEEPmmNS8_4plusImEEEE10hipError_tPvRmT1_T2_T3_mT4_P12ihipStream_tbEUlT_E0_NS1_11comp_targetILNS1_3genE9ELNS1_11target_archE1100ELNS1_3gpuE3ELNS1_3repE0EEENS1_30default_config_static_selectorELNS0_4arch9wavefront6targetE0EEEvSP_
    .private_segment_fixed_size: 0
    .sgpr_count:     0
    .sgpr_spill_count: 0
    .symbol:         _ZN7rocprim17ROCPRIM_400000_NS6detail17trampoline_kernelINS0_14default_configENS1_22reduce_config_selectorImEEZNS1_11reduce_implILb1ES3_N6thrust23THRUST_200600_302600_NS11hip_rocprim35transform_pair_of_input_iterators_tImNS8_6detail15normal_iteratorINS8_10device_ptrIiEEEESF_NS8_12not_equal_toIiEEEEPmmNS8_4plusImEEEE10hipError_tPvRmT1_T2_T3_mT4_P12ihipStream_tbEUlT_E0_NS1_11comp_targetILNS1_3genE9ELNS1_11target_archE1100ELNS1_3gpuE3ELNS1_3repE0EEENS1_30default_config_static_selectorELNS0_4arch9wavefront6targetE0EEEvSP_.kd
    .uniform_work_group_size: 1
    .uses_dynamic_stack: false
    .vgpr_count:     0
    .vgpr_spill_count: 0
    .wavefront_size: 32
    .workgroup_processor_mode: 1
  - .args:
      - .offset:         0
        .size:           80
        .value_kind:     by_value
    .group_segment_fixed_size: 128
    .kernarg_segment_align: 8
    .kernarg_segment_size: 80
    .language:       OpenCL C
    .language_version:
      - 2
      - 0
    .max_flat_workgroup_size: 256
    .name:           _ZN7rocprim17ROCPRIM_400000_NS6detail17trampoline_kernelINS0_14default_configENS1_22reduce_config_selectorImEEZNS1_11reduce_implILb1ES3_N6thrust23THRUST_200600_302600_NS11hip_rocprim35transform_pair_of_input_iterators_tImNS8_6detail15normal_iteratorINS8_10device_ptrIiEEEESF_NS8_12not_equal_toIiEEEEPmmNS8_4plusImEEEE10hipError_tPvRmT1_T2_T3_mT4_P12ihipStream_tbEUlT_E0_NS1_11comp_targetILNS1_3genE8ELNS1_11target_archE1030ELNS1_3gpuE2ELNS1_3repE0EEENS1_30default_config_static_selectorELNS0_4arch9wavefront6targetE0EEEvSP_
    .private_segment_fixed_size: 0
    .sgpr_count:     24
    .sgpr_spill_count: 0
    .symbol:         _ZN7rocprim17ROCPRIM_400000_NS6detail17trampoline_kernelINS0_14default_configENS1_22reduce_config_selectorImEEZNS1_11reduce_implILb1ES3_N6thrust23THRUST_200600_302600_NS11hip_rocprim35transform_pair_of_input_iterators_tImNS8_6detail15normal_iteratorINS8_10device_ptrIiEEEESF_NS8_12not_equal_toIiEEEEPmmNS8_4plusImEEEE10hipError_tPvRmT1_T2_T3_mT4_P12ihipStream_tbEUlT_E0_NS1_11comp_targetILNS1_3genE8ELNS1_11target_archE1030ELNS1_3gpuE2ELNS1_3repE0EEENS1_30default_config_static_selectorELNS0_4arch9wavefront6targetE0EEEvSP_.kd
    .uniform_work_group_size: 1
    .uses_dynamic_stack: false
    .vgpr_count:     9
    .vgpr_spill_count: 0
    .wavefront_size: 32
    .workgroup_processor_mode: 1
  - .args:
      - .offset:         0
        .size:           64
        .value_kind:     by_value
    .group_segment_fixed_size: 0
    .kernarg_segment_align: 8
    .kernarg_segment_size: 64
    .language:       OpenCL C
    .language_version:
      - 2
      - 0
    .max_flat_workgroup_size: 256
    .name:           _ZN7rocprim17ROCPRIM_400000_NS6detail17trampoline_kernelINS0_14default_configENS1_22reduce_config_selectorImEEZNS1_11reduce_implILb1ES3_N6thrust23THRUST_200600_302600_NS11hip_rocprim35transform_pair_of_input_iterators_tImNS8_6detail15normal_iteratorINS8_10device_ptrIiEEEESF_NS8_12not_equal_toIiEEEEPmmNS8_4plusImEEEE10hipError_tPvRmT1_T2_T3_mT4_P12ihipStream_tbEUlT_E1_NS1_11comp_targetILNS1_3genE0ELNS1_11target_archE4294967295ELNS1_3gpuE0ELNS1_3repE0EEENS1_30default_config_static_selectorELNS0_4arch9wavefront6targetE0EEEvSP_
    .private_segment_fixed_size: 0
    .sgpr_count:     0
    .sgpr_spill_count: 0
    .symbol:         _ZN7rocprim17ROCPRIM_400000_NS6detail17trampoline_kernelINS0_14default_configENS1_22reduce_config_selectorImEEZNS1_11reduce_implILb1ES3_N6thrust23THRUST_200600_302600_NS11hip_rocprim35transform_pair_of_input_iterators_tImNS8_6detail15normal_iteratorINS8_10device_ptrIiEEEESF_NS8_12not_equal_toIiEEEEPmmNS8_4plusImEEEE10hipError_tPvRmT1_T2_T3_mT4_P12ihipStream_tbEUlT_E1_NS1_11comp_targetILNS1_3genE0ELNS1_11target_archE4294967295ELNS1_3gpuE0ELNS1_3repE0EEENS1_30default_config_static_selectorELNS0_4arch9wavefront6targetE0EEEvSP_.kd
    .uniform_work_group_size: 1
    .uses_dynamic_stack: false
    .vgpr_count:     0
    .vgpr_spill_count: 0
    .wavefront_size: 32
    .workgroup_processor_mode: 1
  - .args:
      - .offset:         0
        .size:           64
        .value_kind:     by_value
    .group_segment_fixed_size: 0
    .kernarg_segment_align: 8
    .kernarg_segment_size: 64
    .language:       OpenCL C
    .language_version:
      - 2
      - 0
    .max_flat_workgroup_size: 256
    .name:           _ZN7rocprim17ROCPRIM_400000_NS6detail17trampoline_kernelINS0_14default_configENS1_22reduce_config_selectorImEEZNS1_11reduce_implILb1ES3_N6thrust23THRUST_200600_302600_NS11hip_rocprim35transform_pair_of_input_iterators_tImNS8_6detail15normal_iteratorINS8_10device_ptrIiEEEESF_NS8_12not_equal_toIiEEEEPmmNS8_4plusImEEEE10hipError_tPvRmT1_T2_T3_mT4_P12ihipStream_tbEUlT_E1_NS1_11comp_targetILNS1_3genE5ELNS1_11target_archE942ELNS1_3gpuE9ELNS1_3repE0EEENS1_30default_config_static_selectorELNS0_4arch9wavefront6targetE0EEEvSP_
    .private_segment_fixed_size: 0
    .sgpr_count:     0
    .sgpr_spill_count: 0
    .symbol:         _ZN7rocprim17ROCPRIM_400000_NS6detail17trampoline_kernelINS0_14default_configENS1_22reduce_config_selectorImEEZNS1_11reduce_implILb1ES3_N6thrust23THRUST_200600_302600_NS11hip_rocprim35transform_pair_of_input_iterators_tImNS8_6detail15normal_iteratorINS8_10device_ptrIiEEEESF_NS8_12not_equal_toIiEEEEPmmNS8_4plusImEEEE10hipError_tPvRmT1_T2_T3_mT4_P12ihipStream_tbEUlT_E1_NS1_11comp_targetILNS1_3genE5ELNS1_11target_archE942ELNS1_3gpuE9ELNS1_3repE0EEENS1_30default_config_static_selectorELNS0_4arch9wavefront6targetE0EEEvSP_.kd
    .uniform_work_group_size: 1
    .uses_dynamic_stack: false
    .vgpr_count:     0
    .vgpr_spill_count: 0
    .wavefront_size: 32
    .workgroup_processor_mode: 1
  - .args:
      - .offset:         0
        .size:           64
        .value_kind:     by_value
    .group_segment_fixed_size: 0
    .kernarg_segment_align: 8
    .kernarg_segment_size: 64
    .language:       OpenCL C
    .language_version:
      - 2
      - 0
    .max_flat_workgroup_size: 256
    .name:           _ZN7rocprim17ROCPRIM_400000_NS6detail17trampoline_kernelINS0_14default_configENS1_22reduce_config_selectorImEEZNS1_11reduce_implILb1ES3_N6thrust23THRUST_200600_302600_NS11hip_rocprim35transform_pair_of_input_iterators_tImNS8_6detail15normal_iteratorINS8_10device_ptrIiEEEESF_NS8_12not_equal_toIiEEEEPmmNS8_4plusImEEEE10hipError_tPvRmT1_T2_T3_mT4_P12ihipStream_tbEUlT_E1_NS1_11comp_targetILNS1_3genE4ELNS1_11target_archE910ELNS1_3gpuE8ELNS1_3repE0EEENS1_30default_config_static_selectorELNS0_4arch9wavefront6targetE0EEEvSP_
    .private_segment_fixed_size: 0
    .sgpr_count:     0
    .sgpr_spill_count: 0
    .symbol:         _ZN7rocprim17ROCPRIM_400000_NS6detail17trampoline_kernelINS0_14default_configENS1_22reduce_config_selectorImEEZNS1_11reduce_implILb1ES3_N6thrust23THRUST_200600_302600_NS11hip_rocprim35transform_pair_of_input_iterators_tImNS8_6detail15normal_iteratorINS8_10device_ptrIiEEEESF_NS8_12not_equal_toIiEEEEPmmNS8_4plusImEEEE10hipError_tPvRmT1_T2_T3_mT4_P12ihipStream_tbEUlT_E1_NS1_11comp_targetILNS1_3genE4ELNS1_11target_archE910ELNS1_3gpuE8ELNS1_3repE0EEENS1_30default_config_static_selectorELNS0_4arch9wavefront6targetE0EEEvSP_.kd
    .uniform_work_group_size: 1
    .uses_dynamic_stack: false
    .vgpr_count:     0
    .vgpr_spill_count: 0
    .wavefront_size: 32
    .workgroup_processor_mode: 1
  - .args:
      - .offset:         0
        .size:           64
        .value_kind:     by_value
    .group_segment_fixed_size: 0
    .kernarg_segment_align: 8
    .kernarg_segment_size: 64
    .language:       OpenCL C
    .language_version:
      - 2
      - 0
    .max_flat_workgroup_size: 256
    .name:           _ZN7rocprim17ROCPRIM_400000_NS6detail17trampoline_kernelINS0_14default_configENS1_22reduce_config_selectorImEEZNS1_11reduce_implILb1ES3_N6thrust23THRUST_200600_302600_NS11hip_rocprim35transform_pair_of_input_iterators_tImNS8_6detail15normal_iteratorINS8_10device_ptrIiEEEESF_NS8_12not_equal_toIiEEEEPmmNS8_4plusImEEEE10hipError_tPvRmT1_T2_T3_mT4_P12ihipStream_tbEUlT_E1_NS1_11comp_targetILNS1_3genE3ELNS1_11target_archE908ELNS1_3gpuE7ELNS1_3repE0EEENS1_30default_config_static_selectorELNS0_4arch9wavefront6targetE0EEEvSP_
    .private_segment_fixed_size: 0
    .sgpr_count:     0
    .sgpr_spill_count: 0
    .symbol:         _ZN7rocprim17ROCPRIM_400000_NS6detail17trampoline_kernelINS0_14default_configENS1_22reduce_config_selectorImEEZNS1_11reduce_implILb1ES3_N6thrust23THRUST_200600_302600_NS11hip_rocprim35transform_pair_of_input_iterators_tImNS8_6detail15normal_iteratorINS8_10device_ptrIiEEEESF_NS8_12not_equal_toIiEEEEPmmNS8_4plusImEEEE10hipError_tPvRmT1_T2_T3_mT4_P12ihipStream_tbEUlT_E1_NS1_11comp_targetILNS1_3genE3ELNS1_11target_archE908ELNS1_3gpuE7ELNS1_3repE0EEENS1_30default_config_static_selectorELNS0_4arch9wavefront6targetE0EEEvSP_.kd
    .uniform_work_group_size: 1
    .uses_dynamic_stack: false
    .vgpr_count:     0
    .vgpr_spill_count: 0
    .wavefront_size: 32
    .workgroup_processor_mode: 1
  - .args:
      - .offset:         0
        .size:           64
        .value_kind:     by_value
    .group_segment_fixed_size: 0
    .kernarg_segment_align: 8
    .kernarg_segment_size: 64
    .language:       OpenCL C
    .language_version:
      - 2
      - 0
    .max_flat_workgroup_size: 256
    .name:           _ZN7rocprim17ROCPRIM_400000_NS6detail17trampoline_kernelINS0_14default_configENS1_22reduce_config_selectorImEEZNS1_11reduce_implILb1ES3_N6thrust23THRUST_200600_302600_NS11hip_rocprim35transform_pair_of_input_iterators_tImNS8_6detail15normal_iteratorINS8_10device_ptrIiEEEESF_NS8_12not_equal_toIiEEEEPmmNS8_4plusImEEEE10hipError_tPvRmT1_T2_T3_mT4_P12ihipStream_tbEUlT_E1_NS1_11comp_targetILNS1_3genE2ELNS1_11target_archE906ELNS1_3gpuE6ELNS1_3repE0EEENS1_30default_config_static_selectorELNS0_4arch9wavefront6targetE0EEEvSP_
    .private_segment_fixed_size: 0
    .sgpr_count:     0
    .sgpr_spill_count: 0
    .symbol:         _ZN7rocprim17ROCPRIM_400000_NS6detail17trampoline_kernelINS0_14default_configENS1_22reduce_config_selectorImEEZNS1_11reduce_implILb1ES3_N6thrust23THRUST_200600_302600_NS11hip_rocprim35transform_pair_of_input_iterators_tImNS8_6detail15normal_iteratorINS8_10device_ptrIiEEEESF_NS8_12not_equal_toIiEEEEPmmNS8_4plusImEEEE10hipError_tPvRmT1_T2_T3_mT4_P12ihipStream_tbEUlT_E1_NS1_11comp_targetILNS1_3genE2ELNS1_11target_archE906ELNS1_3gpuE6ELNS1_3repE0EEENS1_30default_config_static_selectorELNS0_4arch9wavefront6targetE0EEEvSP_.kd
    .uniform_work_group_size: 1
    .uses_dynamic_stack: false
    .vgpr_count:     0
    .vgpr_spill_count: 0
    .wavefront_size: 32
    .workgroup_processor_mode: 1
  - .args:
      - .offset:         0
        .size:           64
        .value_kind:     by_value
    .group_segment_fixed_size: 0
    .kernarg_segment_align: 8
    .kernarg_segment_size: 64
    .language:       OpenCL C
    .language_version:
      - 2
      - 0
    .max_flat_workgroup_size: 256
    .name:           _ZN7rocprim17ROCPRIM_400000_NS6detail17trampoline_kernelINS0_14default_configENS1_22reduce_config_selectorImEEZNS1_11reduce_implILb1ES3_N6thrust23THRUST_200600_302600_NS11hip_rocprim35transform_pair_of_input_iterators_tImNS8_6detail15normal_iteratorINS8_10device_ptrIiEEEESF_NS8_12not_equal_toIiEEEEPmmNS8_4plusImEEEE10hipError_tPvRmT1_T2_T3_mT4_P12ihipStream_tbEUlT_E1_NS1_11comp_targetILNS1_3genE10ELNS1_11target_archE1201ELNS1_3gpuE5ELNS1_3repE0EEENS1_30default_config_static_selectorELNS0_4arch9wavefront6targetE0EEEvSP_
    .private_segment_fixed_size: 0
    .sgpr_count:     0
    .sgpr_spill_count: 0
    .symbol:         _ZN7rocprim17ROCPRIM_400000_NS6detail17trampoline_kernelINS0_14default_configENS1_22reduce_config_selectorImEEZNS1_11reduce_implILb1ES3_N6thrust23THRUST_200600_302600_NS11hip_rocprim35transform_pair_of_input_iterators_tImNS8_6detail15normal_iteratorINS8_10device_ptrIiEEEESF_NS8_12not_equal_toIiEEEEPmmNS8_4plusImEEEE10hipError_tPvRmT1_T2_T3_mT4_P12ihipStream_tbEUlT_E1_NS1_11comp_targetILNS1_3genE10ELNS1_11target_archE1201ELNS1_3gpuE5ELNS1_3repE0EEENS1_30default_config_static_selectorELNS0_4arch9wavefront6targetE0EEEvSP_.kd
    .uniform_work_group_size: 1
    .uses_dynamic_stack: false
    .vgpr_count:     0
    .vgpr_spill_count: 0
    .wavefront_size: 32
    .workgroup_processor_mode: 1
  - .args:
      - .offset:         0
        .size:           64
        .value_kind:     by_value
    .group_segment_fixed_size: 0
    .kernarg_segment_align: 8
    .kernarg_segment_size: 64
    .language:       OpenCL C
    .language_version:
      - 2
      - 0
    .max_flat_workgroup_size: 256
    .name:           _ZN7rocprim17ROCPRIM_400000_NS6detail17trampoline_kernelINS0_14default_configENS1_22reduce_config_selectorImEEZNS1_11reduce_implILb1ES3_N6thrust23THRUST_200600_302600_NS11hip_rocprim35transform_pair_of_input_iterators_tImNS8_6detail15normal_iteratorINS8_10device_ptrIiEEEESF_NS8_12not_equal_toIiEEEEPmmNS8_4plusImEEEE10hipError_tPvRmT1_T2_T3_mT4_P12ihipStream_tbEUlT_E1_NS1_11comp_targetILNS1_3genE10ELNS1_11target_archE1200ELNS1_3gpuE4ELNS1_3repE0EEENS1_30default_config_static_selectorELNS0_4arch9wavefront6targetE0EEEvSP_
    .private_segment_fixed_size: 0
    .sgpr_count:     0
    .sgpr_spill_count: 0
    .symbol:         _ZN7rocprim17ROCPRIM_400000_NS6detail17trampoline_kernelINS0_14default_configENS1_22reduce_config_selectorImEEZNS1_11reduce_implILb1ES3_N6thrust23THRUST_200600_302600_NS11hip_rocprim35transform_pair_of_input_iterators_tImNS8_6detail15normal_iteratorINS8_10device_ptrIiEEEESF_NS8_12not_equal_toIiEEEEPmmNS8_4plusImEEEE10hipError_tPvRmT1_T2_T3_mT4_P12ihipStream_tbEUlT_E1_NS1_11comp_targetILNS1_3genE10ELNS1_11target_archE1200ELNS1_3gpuE4ELNS1_3repE0EEENS1_30default_config_static_selectorELNS0_4arch9wavefront6targetE0EEEvSP_.kd
    .uniform_work_group_size: 1
    .uses_dynamic_stack: false
    .vgpr_count:     0
    .vgpr_spill_count: 0
    .wavefront_size: 32
    .workgroup_processor_mode: 1
  - .args:
      - .offset:         0
        .size:           64
        .value_kind:     by_value
    .group_segment_fixed_size: 0
    .kernarg_segment_align: 8
    .kernarg_segment_size: 64
    .language:       OpenCL C
    .language_version:
      - 2
      - 0
    .max_flat_workgroup_size: 256
    .name:           _ZN7rocprim17ROCPRIM_400000_NS6detail17trampoline_kernelINS0_14default_configENS1_22reduce_config_selectorImEEZNS1_11reduce_implILb1ES3_N6thrust23THRUST_200600_302600_NS11hip_rocprim35transform_pair_of_input_iterators_tImNS8_6detail15normal_iteratorINS8_10device_ptrIiEEEESF_NS8_12not_equal_toIiEEEEPmmNS8_4plusImEEEE10hipError_tPvRmT1_T2_T3_mT4_P12ihipStream_tbEUlT_E1_NS1_11comp_targetILNS1_3genE9ELNS1_11target_archE1100ELNS1_3gpuE3ELNS1_3repE0EEENS1_30default_config_static_selectorELNS0_4arch9wavefront6targetE0EEEvSP_
    .private_segment_fixed_size: 0
    .sgpr_count:     0
    .sgpr_spill_count: 0
    .symbol:         _ZN7rocprim17ROCPRIM_400000_NS6detail17trampoline_kernelINS0_14default_configENS1_22reduce_config_selectorImEEZNS1_11reduce_implILb1ES3_N6thrust23THRUST_200600_302600_NS11hip_rocprim35transform_pair_of_input_iterators_tImNS8_6detail15normal_iteratorINS8_10device_ptrIiEEEESF_NS8_12not_equal_toIiEEEEPmmNS8_4plusImEEEE10hipError_tPvRmT1_T2_T3_mT4_P12ihipStream_tbEUlT_E1_NS1_11comp_targetILNS1_3genE9ELNS1_11target_archE1100ELNS1_3gpuE3ELNS1_3repE0EEENS1_30default_config_static_selectorELNS0_4arch9wavefront6targetE0EEEvSP_.kd
    .uniform_work_group_size: 1
    .uses_dynamic_stack: false
    .vgpr_count:     0
    .vgpr_spill_count: 0
    .wavefront_size: 32
    .workgroup_processor_mode: 1
  - .args:
      - .offset:         0
        .size:           64
        .value_kind:     by_value
    .group_segment_fixed_size: 384
    .kernarg_segment_align: 8
    .kernarg_segment_size: 64
    .language:       OpenCL C
    .language_version:
      - 2
      - 0
    .max_flat_workgroup_size: 256
    .name:           _ZN7rocprim17ROCPRIM_400000_NS6detail17trampoline_kernelINS0_14default_configENS1_22reduce_config_selectorImEEZNS1_11reduce_implILb1ES3_N6thrust23THRUST_200600_302600_NS11hip_rocprim35transform_pair_of_input_iterators_tImNS8_6detail15normal_iteratorINS8_10device_ptrIiEEEESF_NS8_12not_equal_toIiEEEEPmmNS8_4plusImEEEE10hipError_tPvRmT1_T2_T3_mT4_P12ihipStream_tbEUlT_E1_NS1_11comp_targetILNS1_3genE8ELNS1_11target_archE1030ELNS1_3gpuE2ELNS1_3repE0EEENS1_30default_config_static_selectorELNS0_4arch9wavefront6targetE0EEEvSP_
    .private_segment_fixed_size: 0
    .sgpr_count:     38
    .sgpr_spill_count: 0
    .symbol:         _ZN7rocprim17ROCPRIM_400000_NS6detail17trampoline_kernelINS0_14default_configENS1_22reduce_config_selectorImEEZNS1_11reduce_implILb1ES3_N6thrust23THRUST_200600_302600_NS11hip_rocprim35transform_pair_of_input_iterators_tImNS8_6detail15normal_iteratorINS8_10device_ptrIiEEEESF_NS8_12not_equal_toIiEEEEPmmNS8_4plusImEEEE10hipError_tPvRmT1_T2_T3_mT4_P12ihipStream_tbEUlT_E1_NS1_11comp_targetILNS1_3genE8ELNS1_11target_archE1030ELNS1_3gpuE2ELNS1_3repE0EEENS1_30default_config_static_selectorELNS0_4arch9wavefront6targetE0EEEvSP_.kd
    .uniform_work_group_size: 1
    .uses_dynamic_stack: false
    .vgpr_count:     38
    .vgpr_spill_count: 0
    .wavefront_size: 32
    .workgroup_processor_mode: 1
  - .args:
      - .offset:         0
        .size:           48
        .value_kind:     by_value
    .group_segment_fixed_size: 0
    .kernarg_segment_align: 8
    .kernarg_segment_size: 48
    .language:       OpenCL C
    .language_version:
      - 2
      - 0
    .max_flat_workgroup_size: 128
    .name:           _ZN7rocprim17ROCPRIM_400000_NS6detail17trampoline_kernelINS0_14default_configENS1_25transform_config_selectorImLb0EEEZNS1_14transform_implILb0ES3_S5_NS0_17constant_iteratorImlEEPmNS0_8identityImEEEE10hipError_tT2_T3_mT4_P12ihipStream_tbEUlT_E_NS1_11comp_targetILNS1_3genE0ELNS1_11target_archE4294967295ELNS1_3gpuE0ELNS1_3repE0EEENS1_30default_config_static_selectorELNS0_4arch9wavefront6targetE0EEEvT1_
    .private_segment_fixed_size: 0
    .sgpr_count:     0
    .sgpr_spill_count: 0
    .symbol:         _ZN7rocprim17ROCPRIM_400000_NS6detail17trampoline_kernelINS0_14default_configENS1_25transform_config_selectorImLb0EEEZNS1_14transform_implILb0ES3_S5_NS0_17constant_iteratorImlEEPmNS0_8identityImEEEE10hipError_tT2_T3_mT4_P12ihipStream_tbEUlT_E_NS1_11comp_targetILNS1_3genE0ELNS1_11target_archE4294967295ELNS1_3gpuE0ELNS1_3repE0EEENS1_30default_config_static_selectorELNS0_4arch9wavefront6targetE0EEEvT1_.kd
    .uniform_work_group_size: 1
    .uses_dynamic_stack: false
    .vgpr_count:     0
    .vgpr_spill_count: 0
    .wavefront_size: 32
    .workgroup_processor_mode: 1
  - .args:
      - .offset:         0
        .size:           48
        .value_kind:     by_value
    .group_segment_fixed_size: 0
    .kernarg_segment_align: 8
    .kernarg_segment_size: 48
    .language:       OpenCL C
    .language_version:
      - 2
      - 0
    .max_flat_workgroup_size: 512
    .name:           _ZN7rocprim17ROCPRIM_400000_NS6detail17trampoline_kernelINS0_14default_configENS1_25transform_config_selectorImLb0EEEZNS1_14transform_implILb0ES3_S5_NS0_17constant_iteratorImlEEPmNS0_8identityImEEEE10hipError_tT2_T3_mT4_P12ihipStream_tbEUlT_E_NS1_11comp_targetILNS1_3genE5ELNS1_11target_archE942ELNS1_3gpuE9ELNS1_3repE0EEENS1_30default_config_static_selectorELNS0_4arch9wavefront6targetE0EEEvT1_
    .private_segment_fixed_size: 0
    .sgpr_count:     0
    .sgpr_spill_count: 0
    .symbol:         _ZN7rocprim17ROCPRIM_400000_NS6detail17trampoline_kernelINS0_14default_configENS1_25transform_config_selectorImLb0EEEZNS1_14transform_implILb0ES3_S5_NS0_17constant_iteratorImlEEPmNS0_8identityImEEEE10hipError_tT2_T3_mT4_P12ihipStream_tbEUlT_E_NS1_11comp_targetILNS1_3genE5ELNS1_11target_archE942ELNS1_3gpuE9ELNS1_3repE0EEENS1_30default_config_static_selectorELNS0_4arch9wavefront6targetE0EEEvT1_.kd
    .uniform_work_group_size: 1
    .uses_dynamic_stack: false
    .vgpr_count:     0
    .vgpr_spill_count: 0
    .wavefront_size: 32
    .workgroup_processor_mode: 1
  - .args:
      - .offset:         0
        .size:           48
        .value_kind:     by_value
    .group_segment_fixed_size: 0
    .kernarg_segment_align: 8
    .kernarg_segment_size: 48
    .language:       OpenCL C
    .language_version:
      - 2
      - 0
    .max_flat_workgroup_size: 256
    .name:           _ZN7rocprim17ROCPRIM_400000_NS6detail17trampoline_kernelINS0_14default_configENS1_25transform_config_selectorImLb0EEEZNS1_14transform_implILb0ES3_S5_NS0_17constant_iteratorImlEEPmNS0_8identityImEEEE10hipError_tT2_T3_mT4_P12ihipStream_tbEUlT_E_NS1_11comp_targetILNS1_3genE4ELNS1_11target_archE910ELNS1_3gpuE8ELNS1_3repE0EEENS1_30default_config_static_selectorELNS0_4arch9wavefront6targetE0EEEvT1_
    .private_segment_fixed_size: 0
    .sgpr_count:     0
    .sgpr_spill_count: 0
    .symbol:         _ZN7rocprim17ROCPRIM_400000_NS6detail17trampoline_kernelINS0_14default_configENS1_25transform_config_selectorImLb0EEEZNS1_14transform_implILb0ES3_S5_NS0_17constant_iteratorImlEEPmNS0_8identityImEEEE10hipError_tT2_T3_mT4_P12ihipStream_tbEUlT_E_NS1_11comp_targetILNS1_3genE4ELNS1_11target_archE910ELNS1_3gpuE8ELNS1_3repE0EEENS1_30default_config_static_selectorELNS0_4arch9wavefront6targetE0EEEvT1_.kd
    .uniform_work_group_size: 1
    .uses_dynamic_stack: false
    .vgpr_count:     0
    .vgpr_spill_count: 0
    .wavefront_size: 32
    .workgroup_processor_mode: 1
  - .args:
      - .offset:         0
        .size:           48
        .value_kind:     by_value
    .group_segment_fixed_size: 0
    .kernarg_segment_align: 8
    .kernarg_segment_size: 48
    .language:       OpenCL C
    .language_version:
      - 2
      - 0
    .max_flat_workgroup_size: 128
    .name:           _ZN7rocprim17ROCPRIM_400000_NS6detail17trampoline_kernelINS0_14default_configENS1_25transform_config_selectorImLb0EEEZNS1_14transform_implILb0ES3_S5_NS0_17constant_iteratorImlEEPmNS0_8identityImEEEE10hipError_tT2_T3_mT4_P12ihipStream_tbEUlT_E_NS1_11comp_targetILNS1_3genE3ELNS1_11target_archE908ELNS1_3gpuE7ELNS1_3repE0EEENS1_30default_config_static_selectorELNS0_4arch9wavefront6targetE0EEEvT1_
    .private_segment_fixed_size: 0
    .sgpr_count:     0
    .sgpr_spill_count: 0
    .symbol:         _ZN7rocprim17ROCPRIM_400000_NS6detail17trampoline_kernelINS0_14default_configENS1_25transform_config_selectorImLb0EEEZNS1_14transform_implILb0ES3_S5_NS0_17constant_iteratorImlEEPmNS0_8identityImEEEE10hipError_tT2_T3_mT4_P12ihipStream_tbEUlT_E_NS1_11comp_targetILNS1_3genE3ELNS1_11target_archE908ELNS1_3gpuE7ELNS1_3repE0EEENS1_30default_config_static_selectorELNS0_4arch9wavefront6targetE0EEEvT1_.kd
    .uniform_work_group_size: 1
    .uses_dynamic_stack: false
    .vgpr_count:     0
    .vgpr_spill_count: 0
    .wavefront_size: 32
    .workgroup_processor_mode: 1
  - .args:
      - .offset:         0
        .size:           48
        .value_kind:     by_value
    .group_segment_fixed_size: 0
    .kernarg_segment_align: 8
    .kernarg_segment_size: 48
    .language:       OpenCL C
    .language_version:
      - 2
      - 0
    .max_flat_workgroup_size: 512
    .name:           _ZN7rocprim17ROCPRIM_400000_NS6detail17trampoline_kernelINS0_14default_configENS1_25transform_config_selectorImLb0EEEZNS1_14transform_implILb0ES3_S5_NS0_17constant_iteratorImlEEPmNS0_8identityImEEEE10hipError_tT2_T3_mT4_P12ihipStream_tbEUlT_E_NS1_11comp_targetILNS1_3genE2ELNS1_11target_archE906ELNS1_3gpuE6ELNS1_3repE0EEENS1_30default_config_static_selectorELNS0_4arch9wavefront6targetE0EEEvT1_
    .private_segment_fixed_size: 0
    .sgpr_count:     0
    .sgpr_spill_count: 0
    .symbol:         _ZN7rocprim17ROCPRIM_400000_NS6detail17trampoline_kernelINS0_14default_configENS1_25transform_config_selectorImLb0EEEZNS1_14transform_implILb0ES3_S5_NS0_17constant_iteratorImlEEPmNS0_8identityImEEEE10hipError_tT2_T3_mT4_P12ihipStream_tbEUlT_E_NS1_11comp_targetILNS1_3genE2ELNS1_11target_archE906ELNS1_3gpuE6ELNS1_3repE0EEENS1_30default_config_static_selectorELNS0_4arch9wavefront6targetE0EEEvT1_.kd
    .uniform_work_group_size: 1
    .uses_dynamic_stack: false
    .vgpr_count:     0
    .vgpr_spill_count: 0
    .wavefront_size: 32
    .workgroup_processor_mode: 1
  - .args:
      - .offset:         0
        .size:           48
        .value_kind:     by_value
    .group_segment_fixed_size: 0
    .kernarg_segment_align: 8
    .kernarg_segment_size: 48
    .language:       OpenCL C
    .language_version:
      - 2
      - 0
    .max_flat_workgroup_size: 1024
    .name:           _ZN7rocprim17ROCPRIM_400000_NS6detail17trampoline_kernelINS0_14default_configENS1_25transform_config_selectorImLb0EEEZNS1_14transform_implILb0ES3_S5_NS0_17constant_iteratorImlEEPmNS0_8identityImEEEE10hipError_tT2_T3_mT4_P12ihipStream_tbEUlT_E_NS1_11comp_targetILNS1_3genE10ELNS1_11target_archE1201ELNS1_3gpuE5ELNS1_3repE0EEENS1_30default_config_static_selectorELNS0_4arch9wavefront6targetE0EEEvT1_
    .private_segment_fixed_size: 0
    .sgpr_count:     0
    .sgpr_spill_count: 0
    .symbol:         _ZN7rocprim17ROCPRIM_400000_NS6detail17trampoline_kernelINS0_14default_configENS1_25transform_config_selectorImLb0EEEZNS1_14transform_implILb0ES3_S5_NS0_17constant_iteratorImlEEPmNS0_8identityImEEEE10hipError_tT2_T3_mT4_P12ihipStream_tbEUlT_E_NS1_11comp_targetILNS1_3genE10ELNS1_11target_archE1201ELNS1_3gpuE5ELNS1_3repE0EEENS1_30default_config_static_selectorELNS0_4arch9wavefront6targetE0EEEvT1_.kd
    .uniform_work_group_size: 1
    .uses_dynamic_stack: false
    .vgpr_count:     0
    .vgpr_spill_count: 0
    .wavefront_size: 32
    .workgroup_processor_mode: 1
  - .args:
      - .offset:         0
        .size:           48
        .value_kind:     by_value
    .group_segment_fixed_size: 0
    .kernarg_segment_align: 8
    .kernarg_segment_size: 48
    .language:       OpenCL C
    .language_version:
      - 2
      - 0
    .max_flat_workgroup_size: 512
    .name:           _ZN7rocprim17ROCPRIM_400000_NS6detail17trampoline_kernelINS0_14default_configENS1_25transform_config_selectorImLb0EEEZNS1_14transform_implILb0ES3_S5_NS0_17constant_iteratorImlEEPmNS0_8identityImEEEE10hipError_tT2_T3_mT4_P12ihipStream_tbEUlT_E_NS1_11comp_targetILNS1_3genE10ELNS1_11target_archE1200ELNS1_3gpuE4ELNS1_3repE0EEENS1_30default_config_static_selectorELNS0_4arch9wavefront6targetE0EEEvT1_
    .private_segment_fixed_size: 0
    .sgpr_count:     0
    .sgpr_spill_count: 0
    .symbol:         _ZN7rocprim17ROCPRIM_400000_NS6detail17trampoline_kernelINS0_14default_configENS1_25transform_config_selectorImLb0EEEZNS1_14transform_implILb0ES3_S5_NS0_17constant_iteratorImlEEPmNS0_8identityImEEEE10hipError_tT2_T3_mT4_P12ihipStream_tbEUlT_E_NS1_11comp_targetILNS1_3genE10ELNS1_11target_archE1200ELNS1_3gpuE4ELNS1_3repE0EEENS1_30default_config_static_selectorELNS0_4arch9wavefront6targetE0EEEvT1_.kd
    .uniform_work_group_size: 1
    .uses_dynamic_stack: false
    .vgpr_count:     0
    .vgpr_spill_count: 0
    .wavefront_size: 32
    .workgroup_processor_mode: 1
  - .args:
      - .offset:         0
        .size:           48
        .value_kind:     by_value
    .group_segment_fixed_size: 0
    .kernarg_segment_align: 8
    .kernarg_segment_size: 48
    .language:       OpenCL C
    .language_version:
      - 2
      - 0
    .max_flat_workgroup_size: 512
    .name:           _ZN7rocprim17ROCPRIM_400000_NS6detail17trampoline_kernelINS0_14default_configENS1_25transform_config_selectorImLb0EEEZNS1_14transform_implILb0ES3_S5_NS0_17constant_iteratorImlEEPmNS0_8identityImEEEE10hipError_tT2_T3_mT4_P12ihipStream_tbEUlT_E_NS1_11comp_targetILNS1_3genE9ELNS1_11target_archE1100ELNS1_3gpuE3ELNS1_3repE0EEENS1_30default_config_static_selectorELNS0_4arch9wavefront6targetE0EEEvT1_
    .private_segment_fixed_size: 0
    .sgpr_count:     0
    .sgpr_spill_count: 0
    .symbol:         _ZN7rocprim17ROCPRIM_400000_NS6detail17trampoline_kernelINS0_14default_configENS1_25transform_config_selectorImLb0EEEZNS1_14transform_implILb0ES3_S5_NS0_17constant_iteratorImlEEPmNS0_8identityImEEEE10hipError_tT2_T3_mT4_P12ihipStream_tbEUlT_E_NS1_11comp_targetILNS1_3genE9ELNS1_11target_archE1100ELNS1_3gpuE3ELNS1_3repE0EEENS1_30default_config_static_selectorELNS0_4arch9wavefront6targetE0EEEvT1_.kd
    .uniform_work_group_size: 1
    .uses_dynamic_stack: false
    .vgpr_count:     0
    .vgpr_spill_count: 0
    .wavefront_size: 32
    .workgroup_processor_mode: 1
  - .args:
      - .offset:         0
        .size:           48
        .value_kind:     by_value
      - .offset:         48
        .size:           4
        .value_kind:     hidden_block_count_x
      - .offset:         52
        .size:           4
        .value_kind:     hidden_block_count_y
      - .offset:         56
        .size:           4
        .value_kind:     hidden_block_count_z
      - .offset:         60
        .size:           2
        .value_kind:     hidden_group_size_x
      - .offset:         62
        .size:           2
        .value_kind:     hidden_group_size_y
      - .offset:         64
        .size:           2
        .value_kind:     hidden_group_size_z
      - .offset:         66
        .size:           2
        .value_kind:     hidden_remainder_x
      - .offset:         68
        .size:           2
        .value_kind:     hidden_remainder_y
      - .offset:         70
        .size:           2
        .value_kind:     hidden_remainder_z
      - .offset:         88
        .size:           8
        .value_kind:     hidden_global_offset_x
      - .offset:         96
        .size:           8
        .value_kind:     hidden_global_offset_y
      - .offset:         104
        .size:           8
        .value_kind:     hidden_global_offset_z
      - .offset:         112
        .size:           2
        .value_kind:     hidden_grid_dims
    .group_segment_fixed_size: 0
    .kernarg_segment_align: 8
    .kernarg_segment_size: 304
    .language:       OpenCL C
    .language_version:
      - 2
      - 0
    .max_flat_workgroup_size: 512
    .name:           _ZN7rocprim17ROCPRIM_400000_NS6detail17trampoline_kernelINS0_14default_configENS1_25transform_config_selectorImLb0EEEZNS1_14transform_implILb0ES3_S5_NS0_17constant_iteratorImlEEPmNS0_8identityImEEEE10hipError_tT2_T3_mT4_P12ihipStream_tbEUlT_E_NS1_11comp_targetILNS1_3genE8ELNS1_11target_archE1030ELNS1_3gpuE2ELNS1_3repE0EEENS1_30default_config_static_selectorELNS0_4arch9wavefront6targetE0EEEvT1_
    .private_segment_fixed_size: 0
    .sgpr_count:     15
    .sgpr_spill_count: 0
    .symbol:         _ZN7rocprim17ROCPRIM_400000_NS6detail17trampoline_kernelINS0_14default_configENS1_25transform_config_selectorImLb0EEEZNS1_14transform_implILb0ES3_S5_NS0_17constant_iteratorImlEEPmNS0_8identityImEEEE10hipError_tT2_T3_mT4_P12ihipStream_tbEUlT_E_NS1_11comp_targetILNS1_3genE8ELNS1_11target_archE1030ELNS1_3gpuE2ELNS1_3repE0EEENS1_30default_config_static_selectorELNS0_4arch9wavefront6targetE0EEEvT1_.kd
    .uniform_work_group_size: 1
    .uses_dynamic_stack: false
    .vgpr_count:     6
    .vgpr_spill_count: 0
    .wavefront_size: 32
    .workgroup_processor_mode: 1
  - .args:
      - .address_space:  global
        .offset:         0
        .size:           8
        .value_kind:     global_buffer
      - .offset:         8
        .size:           4
        .value_kind:     by_value
      - .offset:         12
        .size:           1
        .value_kind:     by_value
      - .offset:         16
        .size:           4
        .value_kind:     by_value
      - .address_space:  global
        .offset:         24
        .size:           8
        .value_kind:     global_buffer
      - .address_space:  global
        .offset:         32
        .size:           8
        .value_kind:     global_buffer
      - .offset:         40
        .size:           1
        .value_kind:     by_value
      - .offset:         48
        .size:           4
        .value_kind:     hidden_block_count_x
      - .offset:         52
        .size:           4
        .value_kind:     hidden_block_count_y
      - .offset:         56
        .size:           4
        .value_kind:     hidden_block_count_z
      - .offset:         60
        .size:           2
        .value_kind:     hidden_group_size_x
      - .offset:         62
        .size:           2
        .value_kind:     hidden_group_size_y
      - .offset:         64
        .size:           2
        .value_kind:     hidden_group_size_z
      - .offset:         66
        .size:           2
        .value_kind:     hidden_remainder_x
      - .offset:         68
        .size:           2
        .value_kind:     hidden_remainder_y
      - .offset:         70
        .size:           2
        .value_kind:     hidden_remainder_z
      - .offset:         88
        .size:           8
        .value_kind:     hidden_global_offset_x
      - .offset:         96
        .size:           8
        .value_kind:     hidden_global_offset_y
      - .offset:         104
        .size:           8
        .value_kind:     hidden_global_offset_z
      - .offset:         112
        .size:           2
        .value_kind:     hidden_grid_dims
    .group_segment_fixed_size: 0
    .kernarg_segment_align: 8
    .kernarg_segment_size: 304
    .language:       OpenCL C
    .language_version:
      - 2
      - 0
    .max_flat_workgroup_size: 256
    .name:           _ZN7rocprim17ROCPRIM_400000_NS6detail25reduce_by_key_init_kernelINS1_19lookback_scan_stateINS0_5tupleIJjfEEELb0ELb1EEEfNS1_16block_id_wrapperIjLb0EEEEEvT_jbjPmPT0_T1_
    .private_segment_fixed_size: 0
    .sgpr_count:     18
    .sgpr_spill_count: 0
    .symbol:         _ZN7rocprim17ROCPRIM_400000_NS6detail25reduce_by_key_init_kernelINS1_19lookback_scan_stateINS0_5tupleIJjfEEELb0ELb1EEEfNS1_16block_id_wrapperIjLb0EEEEEvT_jbjPmPT0_T1_.kd
    .uniform_work_group_size: 1
    .uses_dynamic_stack: false
    .vgpr_count:     11
    .vgpr_spill_count: 0
    .wavefront_size: 32
    .workgroup_processor_mode: 1
  - .args:
      - .offset:         0
        .size:           120
        .value_kind:     by_value
    .group_segment_fixed_size: 0
    .kernarg_segment_align: 8
    .kernarg_segment_size: 120
    .language:       OpenCL C
    .language_version:
      - 2
      - 0
    .max_flat_workgroup_size: 256
    .name:           _ZN7rocprim17ROCPRIM_400000_NS6detail17trampoline_kernelINS0_14default_configENS1_29reduce_by_key_config_selectorIifN6thrust23THRUST_200600_302600_NS4plusIfEEEEZZNS1_33reduce_by_key_impl_wrapped_configILNS1_25lookback_scan_determinismE0ES3_S9_NS6_6detail15normal_iteratorINS6_10device_ptrIiEEEENSD_INSE_IfEEEESG_SI_PmS8_NS6_8equal_toIiEEEE10hipError_tPvRmT2_T3_mT4_T5_T6_T7_T8_P12ihipStream_tbENKUlT_T0_E_clISt17integral_constantIbLb0EES13_EEDaSY_SZ_EUlSY_E_NS1_11comp_targetILNS1_3genE0ELNS1_11target_archE4294967295ELNS1_3gpuE0ELNS1_3repE0EEENS1_30default_config_static_selectorELNS0_4arch9wavefront6targetE0EEEvT1_
    .private_segment_fixed_size: 0
    .sgpr_count:     0
    .sgpr_spill_count: 0
    .symbol:         _ZN7rocprim17ROCPRIM_400000_NS6detail17trampoline_kernelINS0_14default_configENS1_29reduce_by_key_config_selectorIifN6thrust23THRUST_200600_302600_NS4plusIfEEEEZZNS1_33reduce_by_key_impl_wrapped_configILNS1_25lookback_scan_determinismE0ES3_S9_NS6_6detail15normal_iteratorINS6_10device_ptrIiEEEENSD_INSE_IfEEEESG_SI_PmS8_NS6_8equal_toIiEEEE10hipError_tPvRmT2_T3_mT4_T5_T6_T7_T8_P12ihipStream_tbENKUlT_T0_E_clISt17integral_constantIbLb0EES13_EEDaSY_SZ_EUlSY_E_NS1_11comp_targetILNS1_3genE0ELNS1_11target_archE4294967295ELNS1_3gpuE0ELNS1_3repE0EEENS1_30default_config_static_selectorELNS0_4arch9wavefront6targetE0EEEvT1_.kd
    .uniform_work_group_size: 1
    .uses_dynamic_stack: false
    .vgpr_count:     0
    .vgpr_spill_count: 0
    .wavefront_size: 32
    .workgroup_processor_mode: 1
  - .args:
      - .offset:         0
        .size:           120
        .value_kind:     by_value
    .group_segment_fixed_size: 0
    .kernarg_segment_align: 8
    .kernarg_segment_size: 120
    .language:       OpenCL C
    .language_version:
      - 2
      - 0
    .max_flat_workgroup_size: 256
    .name:           _ZN7rocprim17ROCPRIM_400000_NS6detail17trampoline_kernelINS0_14default_configENS1_29reduce_by_key_config_selectorIifN6thrust23THRUST_200600_302600_NS4plusIfEEEEZZNS1_33reduce_by_key_impl_wrapped_configILNS1_25lookback_scan_determinismE0ES3_S9_NS6_6detail15normal_iteratorINS6_10device_ptrIiEEEENSD_INSE_IfEEEESG_SI_PmS8_NS6_8equal_toIiEEEE10hipError_tPvRmT2_T3_mT4_T5_T6_T7_T8_P12ihipStream_tbENKUlT_T0_E_clISt17integral_constantIbLb0EES13_EEDaSY_SZ_EUlSY_E_NS1_11comp_targetILNS1_3genE5ELNS1_11target_archE942ELNS1_3gpuE9ELNS1_3repE0EEENS1_30default_config_static_selectorELNS0_4arch9wavefront6targetE0EEEvT1_
    .private_segment_fixed_size: 0
    .sgpr_count:     0
    .sgpr_spill_count: 0
    .symbol:         _ZN7rocprim17ROCPRIM_400000_NS6detail17trampoline_kernelINS0_14default_configENS1_29reduce_by_key_config_selectorIifN6thrust23THRUST_200600_302600_NS4plusIfEEEEZZNS1_33reduce_by_key_impl_wrapped_configILNS1_25lookback_scan_determinismE0ES3_S9_NS6_6detail15normal_iteratorINS6_10device_ptrIiEEEENSD_INSE_IfEEEESG_SI_PmS8_NS6_8equal_toIiEEEE10hipError_tPvRmT2_T3_mT4_T5_T6_T7_T8_P12ihipStream_tbENKUlT_T0_E_clISt17integral_constantIbLb0EES13_EEDaSY_SZ_EUlSY_E_NS1_11comp_targetILNS1_3genE5ELNS1_11target_archE942ELNS1_3gpuE9ELNS1_3repE0EEENS1_30default_config_static_selectorELNS0_4arch9wavefront6targetE0EEEvT1_.kd
    .uniform_work_group_size: 1
    .uses_dynamic_stack: false
    .vgpr_count:     0
    .vgpr_spill_count: 0
    .wavefront_size: 32
    .workgroup_processor_mode: 1
  - .args:
      - .offset:         0
        .size:           120
        .value_kind:     by_value
    .group_segment_fixed_size: 0
    .kernarg_segment_align: 8
    .kernarg_segment_size: 120
    .language:       OpenCL C
    .language_version:
      - 2
      - 0
    .max_flat_workgroup_size: 256
    .name:           _ZN7rocprim17ROCPRIM_400000_NS6detail17trampoline_kernelINS0_14default_configENS1_29reduce_by_key_config_selectorIifN6thrust23THRUST_200600_302600_NS4plusIfEEEEZZNS1_33reduce_by_key_impl_wrapped_configILNS1_25lookback_scan_determinismE0ES3_S9_NS6_6detail15normal_iteratorINS6_10device_ptrIiEEEENSD_INSE_IfEEEESG_SI_PmS8_NS6_8equal_toIiEEEE10hipError_tPvRmT2_T3_mT4_T5_T6_T7_T8_P12ihipStream_tbENKUlT_T0_E_clISt17integral_constantIbLb0EES13_EEDaSY_SZ_EUlSY_E_NS1_11comp_targetILNS1_3genE4ELNS1_11target_archE910ELNS1_3gpuE8ELNS1_3repE0EEENS1_30default_config_static_selectorELNS0_4arch9wavefront6targetE0EEEvT1_
    .private_segment_fixed_size: 0
    .sgpr_count:     0
    .sgpr_spill_count: 0
    .symbol:         _ZN7rocprim17ROCPRIM_400000_NS6detail17trampoline_kernelINS0_14default_configENS1_29reduce_by_key_config_selectorIifN6thrust23THRUST_200600_302600_NS4plusIfEEEEZZNS1_33reduce_by_key_impl_wrapped_configILNS1_25lookback_scan_determinismE0ES3_S9_NS6_6detail15normal_iteratorINS6_10device_ptrIiEEEENSD_INSE_IfEEEESG_SI_PmS8_NS6_8equal_toIiEEEE10hipError_tPvRmT2_T3_mT4_T5_T6_T7_T8_P12ihipStream_tbENKUlT_T0_E_clISt17integral_constantIbLb0EES13_EEDaSY_SZ_EUlSY_E_NS1_11comp_targetILNS1_3genE4ELNS1_11target_archE910ELNS1_3gpuE8ELNS1_3repE0EEENS1_30default_config_static_selectorELNS0_4arch9wavefront6targetE0EEEvT1_.kd
    .uniform_work_group_size: 1
    .uses_dynamic_stack: false
    .vgpr_count:     0
    .vgpr_spill_count: 0
    .wavefront_size: 32
    .workgroup_processor_mode: 1
  - .args:
      - .offset:         0
        .size:           120
        .value_kind:     by_value
    .group_segment_fixed_size: 0
    .kernarg_segment_align: 8
    .kernarg_segment_size: 120
    .language:       OpenCL C
    .language_version:
      - 2
      - 0
    .max_flat_workgroup_size: 256
    .name:           _ZN7rocprim17ROCPRIM_400000_NS6detail17trampoline_kernelINS0_14default_configENS1_29reduce_by_key_config_selectorIifN6thrust23THRUST_200600_302600_NS4plusIfEEEEZZNS1_33reduce_by_key_impl_wrapped_configILNS1_25lookback_scan_determinismE0ES3_S9_NS6_6detail15normal_iteratorINS6_10device_ptrIiEEEENSD_INSE_IfEEEESG_SI_PmS8_NS6_8equal_toIiEEEE10hipError_tPvRmT2_T3_mT4_T5_T6_T7_T8_P12ihipStream_tbENKUlT_T0_E_clISt17integral_constantIbLb0EES13_EEDaSY_SZ_EUlSY_E_NS1_11comp_targetILNS1_3genE3ELNS1_11target_archE908ELNS1_3gpuE7ELNS1_3repE0EEENS1_30default_config_static_selectorELNS0_4arch9wavefront6targetE0EEEvT1_
    .private_segment_fixed_size: 0
    .sgpr_count:     0
    .sgpr_spill_count: 0
    .symbol:         _ZN7rocprim17ROCPRIM_400000_NS6detail17trampoline_kernelINS0_14default_configENS1_29reduce_by_key_config_selectorIifN6thrust23THRUST_200600_302600_NS4plusIfEEEEZZNS1_33reduce_by_key_impl_wrapped_configILNS1_25lookback_scan_determinismE0ES3_S9_NS6_6detail15normal_iteratorINS6_10device_ptrIiEEEENSD_INSE_IfEEEESG_SI_PmS8_NS6_8equal_toIiEEEE10hipError_tPvRmT2_T3_mT4_T5_T6_T7_T8_P12ihipStream_tbENKUlT_T0_E_clISt17integral_constantIbLb0EES13_EEDaSY_SZ_EUlSY_E_NS1_11comp_targetILNS1_3genE3ELNS1_11target_archE908ELNS1_3gpuE7ELNS1_3repE0EEENS1_30default_config_static_selectorELNS0_4arch9wavefront6targetE0EEEvT1_.kd
    .uniform_work_group_size: 1
    .uses_dynamic_stack: false
    .vgpr_count:     0
    .vgpr_spill_count: 0
    .wavefront_size: 32
    .workgroup_processor_mode: 1
  - .args:
      - .offset:         0
        .size:           120
        .value_kind:     by_value
    .group_segment_fixed_size: 0
    .kernarg_segment_align: 8
    .kernarg_segment_size: 120
    .language:       OpenCL C
    .language_version:
      - 2
      - 0
    .max_flat_workgroup_size: 256
    .name:           _ZN7rocprim17ROCPRIM_400000_NS6detail17trampoline_kernelINS0_14default_configENS1_29reduce_by_key_config_selectorIifN6thrust23THRUST_200600_302600_NS4plusIfEEEEZZNS1_33reduce_by_key_impl_wrapped_configILNS1_25lookback_scan_determinismE0ES3_S9_NS6_6detail15normal_iteratorINS6_10device_ptrIiEEEENSD_INSE_IfEEEESG_SI_PmS8_NS6_8equal_toIiEEEE10hipError_tPvRmT2_T3_mT4_T5_T6_T7_T8_P12ihipStream_tbENKUlT_T0_E_clISt17integral_constantIbLb0EES13_EEDaSY_SZ_EUlSY_E_NS1_11comp_targetILNS1_3genE2ELNS1_11target_archE906ELNS1_3gpuE6ELNS1_3repE0EEENS1_30default_config_static_selectorELNS0_4arch9wavefront6targetE0EEEvT1_
    .private_segment_fixed_size: 0
    .sgpr_count:     0
    .sgpr_spill_count: 0
    .symbol:         _ZN7rocprim17ROCPRIM_400000_NS6detail17trampoline_kernelINS0_14default_configENS1_29reduce_by_key_config_selectorIifN6thrust23THRUST_200600_302600_NS4plusIfEEEEZZNS1_33reduce_by_key_impl_wrapped_configILNS1_25lookback_scan_determinismE0ES3_S9_NS6_6detail15normal_iteratorINS6_10device_ptrIiEEEENSD_INSE_IfEEEESG_SI_PmS8_NS6_8equal_toIiEEEE10hipError_tPvRmT2_T3_mT4_T5_T6_T7_T8_P12ihipStream_tbENKUlT_T0_E_clISt17integral_constantIbLb0EES13_EEDaSY_SZ_EUlSY_E_NS1_11comp_targetILNS1_3genE2ELNS1_11target_archE906ELNS1_3gpuE6ELNS1_3repE0EEENS1_30default_config_static_selectorELNS0_4arch9wavefront6targetE0EEEvT1_.kd
    .uniform_work_group_size: 1
    .uses_dynamic_stack: false
    .vgpr_count:     0
    .vgpr_spill_count: 0
    .wavefront_size: 32
    .workgroup_processor_mode: 1
  - .args:
      - .offset:         0
        .size:           120
        .value_kind:     by_value
    .group_segment_fixed_size: 0
    .kernarg_segment_align: 8
    .kernarg_segment_size: 120
    .language:       OpenCL C
    .language_version:
      - 2
      - 0
    .max_flat_workgroup_size: 256
    .name:           _ZN7rocprim17ROCPRIM_400000_NS6detail17trampoline_kernelINS0_14default_configENS1_29reduce_by_key_config_selectorIifN6thrust23THRUST_200600_302600_NS4plusIfEEEEZZNS1_33reduce_by_key_impl_wrapped_configILNS1_25lookback_scan_determinismE0ES3_S9_NS6_6detail15normal_iteratorINS6_10device_ptrIiEEEENSD_INSE_IfEEEESG_SI_PmS8_NS6_8equal_toIiEEEE10hipError_tPvRmT2_T3_mT4_T5_T6_T7_T8_P12ihipStream_tbENKUlT_T0_E_clISt17integral_constantIbLb0EES13_EEDaSY_SZ_EUlSY_E_NS1_11comp_targetILNS1_3genE10ELNS1_11target_archE1201ELNS1_3gpuE5ELNS1_3repE0EEENS1_30default_config_static_selectorELNS0_4arch9wavefront6targetE0EEEvT1_
    .private_segment_fixed_size: 0
    .sgpr_count:     0
    .sgpr_spill_count: 0
    .symbol:         _ZN7rocprim17ROCPRIM_400000_NS6detail17trampoline_kernelINS0_14default_configENS1_29reduce_by_key_config_selectorIifN6thrust23THRUST_200600_302600_NS4plusIfEEEEZZNS1_33reduce_by_key_impl_wrapped_configILNS1_25lookback_scan_determinismE0ES3_S9_NS6_6detail15normal_iteratorINS6_10device_ptrIiEEEENSD_INSE_IfEEEESG_SI_PmS8_NS6_8equal_toIiEEEE10hipError_tPvRmT2_T3_mT4_T5_T6_T7_T8_P12ihipStream_tbENKUlT_T0_E_clISt17integral_constantIbLb0EES13_EEDaSY_SZ_EUlSY_E_NS1_11comp_targetILNS1_3genE10ELNS1_11target_archE1201ELNS1_3gpuE5ELNS1_3repE0EEENS1_30default_config_static_selectorELNS0_4arch9wavefront6targetE0EEEvT1_.kd
    .uniform_work_group_size: 1
    .uses_dynamic_stack: false
    .vgpr_count:     0
    .vgpr_spill_count: 0
    .wavefront_size: 32
    .workgroup_processor_mode: 1
  - .args:
      - .offset:         0
        .size:           120
        .value_kind:     by_value
    .group_segment_fixed_size: 0
    .kernarg_segment_align: 8
    .kernarg_segment_size: 120
    .language:       OpenCL C
    .language_version:
      - 2
      - 0
    .max_flat_workgroup_size: 256
    .name:           _ZN7rocprim17ROCPRIM_400000_NS6detail17trampoline_kernelINS0_14default_configENS1_29reduce_by_key_config_selectorIifN6thrust23THRUST_200600_302600_NS4plusIfEEEEZZNS1_33reduce_by_key_impl_wrapped_configILNS1_25lookback_scan_determinismE0ES3_S9_NS6_6detail15normal_iteratorINS6_10device_ptrIiEEEENSD_INSE_IfEEEESG_SI_PmS8_NS6_8equal_toIiEEEE10hipError_tPvRmT2_T3_mT4_T5_T6_T7_T8_P12ihipStream_tbENKUlT_T0_E_clISt17integral_constantIbLb0EES13_EEDaSY_SZ_EUlSY_E_NS1_11comp_targetILNS1_3genE10ELNS1_11target_archE1200ELNS1_3gpuE4ELNS1_3repE0EEENS1_30default_config_static_selectorELNS0_4arch9wavefront6targetE0EEEvT1_
    .private_segment_fixed_size: 0
    .sgpr_count:     0
    .sgpr_spill_count: 0
    .symbol:         _ZN7rocprim17ROCPRIM_400000_NS6detail17trampoline_kernelINS0_14default_configENS1_29reduce_by_key_config_selectorIifN6thrust23THRUST_200600_302600_NS4plusIfEEEEZZNS1_33reduce_by_key_impl_wrapped_configILNS1_25lookback_scan_determinismE0ES3_S9_NS6_6detail15normal_iteratorINS6_10device_ptrIiEEEENSD_INSE_IfEEEESG_SI_PmS8_NS6_8equal_toIiEEEE10hipError_tPvRmT2_T3_mT4_T5_T6_T7_T8_P12ihipStream_tbENKUlT_T0_E_clISt17integral_constantIbLb0EES13_EEDaSY_SZ_EUlSY_E_NS1_11comp_targetILNS1_3genE10ELNS1_11target_archE1200ELNS1_3gpuE4ELNS1_3repE0EEENS1_30default_config_static_selectorELNS0_4arch9wavefront6targetE0EEEvT1_.kd
    .uniform_work_group_size: 1
    .uses_dynamic_stack: false
    .vgpr_count:     0
    .vgpr_spill_count: 0
    .wavefront_size: 32
    .workgroup_processor_mode: 1
  - .args:
      - .offset:         0
        .size:           120
        .value_kind:     by_value
    .group_segment_fixed_size: 0
    .kernarg_segment_align: 8
    .kernarg_segment_size: 120
    .language:       OpenCL C
    .language_version:
      - 2
      - 0
    .max_flat_workgroup_size: 256
    .name:           _ZN7rocprim17ROCPRIM_400000_NS6detail17trampoline_kernelINS0_14default_configENS1_29reduce_by_key_config_selectorIifN6thrust23THRUST_200600_302600_NS4plusIfEEEEZZNS1_33reduce_by_key_impl_wrapped_configILNS1_25lookback_scan_determinismE0ES3_S9_NS6_6detail15normal_iteratorINS6_10device_ptrIiEEEENSD_INSE_IfEEEESG_SI_PmS8_NS6_8equal_toIiEEEE10hipError_tPvRmT2_T3_mT4_T5_T6_T7_T8_P12ihipStream_tbENKUlT_T0_E_clISt17integral_constantIbLb0EES13_EEDaSY_SZ_EUlSY_E_NS1_11comp_targetILNS1_3genE9ELNS1_11target_archE1100ELNS1_3gpuE3ELNS1_3repE0EEENS1_30default_config_static_selectorELNS0_4arch9wavefront6targetE0EEEvT1_
    .private_segment_fixed_size: 0
    .sgpr_count:     0
    .sgpr_spill_count: 0
    .symbol:         _ZN7rocprim17ROCPRIM_400000_NS6detail17trampoline_kernelINS0_14default_configENS1_29reduce_by_key_config_selectorIifN6thrust23THRUST_200600_302600_NS4plusIfEEEEZZNS1_33reduce_by_key_impl_wrapped_configILNS1_25lookback_scan_determinismE0ES3_S9_NS6_6detail15normal_iteratorINS6_10device_ptrIiEEEENSD_INSE_IfEEEESG_SI_PmS8_NS6_8equal_toIiEEEE10hipError_tPvRmT2_T3_mT4_T5_T6_T7_T8_P12ihipStream_tbENKUlT_T0_E_clISt17integral_constantIbLb0EES13_EEDaSY_SZ_EUlSY_E_NS1_11comp_targetILNS1_3genE9ELNS1_11target_archE1100ELNS1_3gpuE3ELNS1_3repE0EEENS1_30default_config_static_selectorELNS0_4arch9wavefront6targetE0EEEvT1_.kd
    .uniform_work_group_size: 1
    .uses_dynamic_stack: false
    .vgpr_count:     0
    .vgpr_spill_count: 0
    .wavefront_size: 32
    .workgroup_processor_mode: 1
  - .args:
      - .offset:         0
        .size:           120
        .value_kind:     by_value
    .group_segment_fixed_size: 15360
    .kernarg_segment_align: 8
    .kernarg_segment_size: 120
    .language:       OpenCL C
    .language_version:
      - 2
      - 0
    .max_flat_workgroup_size: 256
    .name:           _ZN7rocprim17ROCPRIM_400000_NS6detail17trampoline_kernelINS0_14default_configENS1_29reduce_by_key_config_selectorIifN6thrust23THRUST_200600_302600_NS4plusIfEEEEZZNS1_33reduce_by_key_impl_wrapped_configILNS1_25lookback_scan_determinismE0ES3_S9_NS6_6detail15normal_iteratorINS6_10device_ptrIiEEEENSD_INSE_IfEEEESG_SI_PmS8_NS6_8equal_toIiEEEE10hipError_tPvRmT2_T3_mT4_T5_T6_T7_T8_P12ihipStream_tbENKUlT_T0_E_clISt17integral_constantIbLb0EES13_EEDaSY_SZ_EUlSY_E_NS1_11comp_targetILNS1_3genE8ELNS1_11target_archE1030ELNS1_3gpuE2ELNS1_3repE0EEENS1_30default_config_static_selectorELNS0_4arch9wavefront6targetE0EEEvT1_
    .private_segment_fixed_size: 0
    .sgpr_count:     46
    .sgpr_spill_count: 0
    .symbol:         _ZN7rocprim17ROCPRIM_400000_NS6detail17trampoline_kernelINS0_14default_configENS1_29reduce_by_key_config_selectorIifN6thrust23THRUST_200600_302600_NS4plusIfEEEEZZNS1_33reduce_by_key_impl_wrapped_configILNS1_25lookback_scan_determinismE0ES3_S9_NS6_6detail15normal_iteratorINS6_10device_ptrIiEEEENSD_INSE_IfEEEESG_SI_PmS8_NS6_8equal_toIiEEEE10hipError_tPvRmT2_T3_mT4_T5_T6_T7_T8_P12ihipStream_tbENKUlT_T0_E_clISt17integral_constantIbLb0EES13_EEDaSY_SZ_EUlSY_E_NS1_11comp_targetILNS1_3genE8ELNS1_11target_archE1030ELNS1_3gpuE2ELNS1_3repE0EEENS1_30default_config_static_selectorELNS0_4arch9wavefront6targetE0EEEvT1_.kd
    .uniform_work_group_size: 1
    .uses_dynamic_stack: false
    .vgpr_count:     86
    .vgpr_spill_count: 0
    .wavefront_size: 32
    .workgroup_processor_mode: 1
  - .args:
      - .address_space:  global
        .offset:         0
        .size:           8
        .value_kind:     global_buffer
      - .offset:         8
        .size:           4
        .value_kind:     by_value
      - .offset:         12
        .size:           1
        .value_kind:     by_value
      - .offset:         16
        .size:           4
        .value_kind:     by_value
      - .address_space:  global
        .offset:         24
        .size:           8
        .value_kind:     global_buffer
      - .address_space:  global
        .offset:         32
        .size:           8
        .value_kind:     global_buffer
      - .address_space:  global
        .offset:         40
        .size:           8
        .value_kind:     global_buffer
      - .offset:         48
        .size:           4
        .value_kind:     hidden_block_count_x
      - .offset:         52
        .size:           4
        .value_kind:     hidden_block_count_y
      - .offset:         56
        .size:           4
        .value_kind:     hidden_block_count_z
      - .offset:         60
        .size:           2
        .value_kind:     hidden_group_size_x
      - .offset:         62
        .size:           2
        .value_kind:     hidden_group_size_y
      - .offset:         64
        .size:           2
        .value_kind:     hidden_group_size_z
      - .offset:         66
        .size:           2
        .value_kind:     hidden_remainder_x
      - .offset:         68
        .size:           2
        .value_kind:     hidden_remainder_y
      - .offset:         70
        .size:           2
        .value_kind:     hidden_remainder_z
      - .offset:         88
        .size:           8
        .value_kind:     hidden_global_offset_x
      - .offset:         96
        .size:           8
        .value_kind:     hidden_global_offset_y
      - .offset:         104
        .size:           8
        .value_kind:     hidden_global_offset_z
      - .offset:         112
        .size:           2
        .value_kind:     hidden_grid_dims
    .group_segment_fixed_size: 0
    .kernarg_segment_align: 8
    .kernarg_segment_size: 304
    .language:       OpenCL C
    .language_version:
      - 2
      - 0
    .max_flat_workgroup_size: 256
    .name:           _ZN7rocprim17ROCPRIM_400000_NS6detail25reduce_by_key_init_kernelINS1_19lookback_scan_stateINS0_5tupleIJjfEEELb1ELb1EEEfNS1_16block_id_wrapperIjLb1EEEEEvT_jbjPmPT0_T1_
    .private_segment_fixed_size: 0
    .sgpr_count:     20
    .sgpr_spill_count: 0
    .symbol:         _ZN7rocprim17ROCPRIM_400000_NS6detail25reduce_by_key_init_kernelINS1_19lookback_scan_stateINS0_5tupleIJjfEEELb1ELb1EEEfNS1_16block_id_wrapperIjLb1EEEEEvT_jbjPmPT0_T1_.kd
    .uniform_work_group_size: 1
    .uses_dynamic_stack: false
    .vgpr_count:     12
    .vgpr_spill_count: 0
    .wavefront_size: 32
    .workgroup_processor_mode: 1
  - .args:
      - .offset:         0
        .size:           120
        .value_kind:     by_value
    .group_segment_fixed_size: 0
    .kernarg_segment_align: 8
    .kernarg_segment_size: 120
    .language:       OpenCL C
    .language_version:
      - 2
      - 0
    .max_flat_workgroup_size: 256
    .name:           _ZN7rocprim17ROCPRIM_400000_NS6detail17trampoline_kernelINS0_14default_configENS1_29reduce_by_key_config_selectorIifN6thrust23THRUST_200600_302600_NS4plusIfEEEEZZNS1_33reduce_by_key_impl_wrapped_configILNS1_25lookback_scan_determinismE0ES3_S9_NS6_6detail15normal_iteratorINS6_10device_ptrIiEEEENSD_INSE_IfEEEESG_SI_PmS8_NS6_8equal_toIiEEEE10hipError_tPvRmT2_T3_mT4_T5_T6_T7_T8_P12ihipStream_tbENKUlT_T0_E_clISt17integral_constantIbLb1EES13_EEDaSY_SZ_EUlSY_E_NS1_11comp_targetILNS1_3genE0ELNS1_11target_archE4294967295ELNS1_3gpuE0ELNS1_3repE0EEENS1_30default_config_static_selectorELNS0_4arch9wavefront6targetE0EEEvT1_
    .private_segment_fixed_size: 0
    .sgpr_count:     0
    .sgpr_spill_count: 0
    .symbol:         _ZN7rocprim17ROCPRIM_400000_NS6detail17trampoline_kernelINS0_14default_configENS1_29reduce_by_key_config_selectorIifN6thrust23THRUST_200600_302600_NS4plusIfEEEEZZNS1_33reduce_by_key_impl_wrapped_configILNS1_25lookback_scan_determinismE0ES3_S9_NS6_6detail15normal_iteratorINS6_10device_ptrIiEEEENSD_INSE_IfEEEESG_SI_PmS8_NS6_8equal_toIiEEEE10hipError_tPvRmT2_T3_mT4_T5_T6_T7_T8_P12ihipStream_tbENKUlT_T0_E_clISt17integral_constantIbLb1EES13_EEDaSY_SZ_EUlSY_E_NS1_11comp_targetILNS1_3genE0ELNS1_11target_archE4294967295ELNS1_3gpuE0ELNS1_3repE0EEENS1_30default_config_static_selectorELNS0_4arch9wavefront6targetE0EEEvT1_.kd
    .uniform_work_group_size: 1
    .uses_dynamic_stack: false
    .vgpr_count:     0
    .vgpr_spill_count: 0
    .wavefront_size: 32
    .workgroup_processor_mode: 1
  - .args:
      - .offset:         0
        .size:           120
        .value_kind:     by_value
    .group_segment_fixed_size: 0
    .kernarg_segment_align: 8
    .kernarg_segment_size: 120
    .language:       OpenCL C
    .language_version:
      - 2
      - 0
    .max_flat_workgroup_size: 256
    .name:           _ZN7rocprim17ROCPRIM_400000_NS6detail17trampoline_kernelINS0_14default_configENS1_29reduce_by_key_config_selectorIifN6thrust23THRUST_200600_302600_NS4plusIfEEEEZZNS1_33reduce_by_key_impl_wrapped_configILNS1_25lookback_scan_determinismE0ES3_S9_NS6_6detail15normal_iteratorINS6_10device_ptrIiEEEENSD_INSE_IfEEEESG_SI_PmS8_NS6_8equal_toIiEEEE10hipError_tPvRmT2_T3_mT4_T5_T6_T7_T8_P12ihipStream_tbENKUlT_T0_E_clISt17integral_constantIbLb1EES13_EEDaSY_SZ_EUlSY_E_NS1_11comp_targetILNS1_3genE5ELNS1_11target_archE942ELNS1_3gpuE9ELNS1_3repE0EEENS1_30default_config_static_selectorELNS0_4arch9wavefront6targetE0EEEvT1_
    .private_segment_fixed_size: 0
    .sgpr_count:     0
    .sgpr_spill_count: 0
    .symbol:         _ZN7rocprim17ROCPRIM_400000_NS6detail17trampoline_kernelINS0_14default_configENS1_29reduce_by_key_config_selectorIifN6thrust23THRUST_200600_302600_NS4plusIfEEEEZZNS1_33reduce_by_key_impl_wrapped_configILNS1_25lookback_scan_determinismE0ES3_S9_NS6_6detail15normal_iteratorINS6_10device_ptrIiEEEENSD_INSE_IfEEEESG_SI_PmS8_NS6_8equal_toIiEEEE10hipError_tPvRmT2_T3_mT4_T5_T6_T7_T8_P12ihipStream_tbENKUlT_T0_E_clISt17integral_constantIbLb1EES13_EEDaSY_SZ_EUlSY_E_NS1_11comp_targetILNS1_3genE5ELNS1_11target_archE942ELNS1_3gpuE9ELNS1_3repE0EEENS1_30default_config_static_selectorELNS0_4arch9wavefront6targetE0EEEvT1_.kd
    .uniform_work_group_size: 1
    .uses_dynamic_stack: false
    .vgpr_count:     0
    .vgpr_spill_count: 0
    .wavefront_size: 32
    .workgroup_processor_mode: 1
  - .args:
      - .offset:         0
        .size:           120
        .value_kind:     by_value
    .group_segment_fixed_size: 0
    .kernarg_segment_align: 8
    .kernarg_segment_size: 120
    .language:       OpenCL C
    .language_version:
      - 2
      - 0
    .max_flat_workgroup_size: 256
    .name:           _ZN7rocprim17ROCPRIM_400000_NS6detail17trampoline_kernelINS0_14default_configENS1_29reduce_by_key_config_selectorIifN6thrust23THRUST_200600_302600_NS4plusIfEEEEZZNS1_33reduce_by_key_impl_wrapped_configILNS1_25lookback_scan_determinismE0ES3_S9_NS6_6detail15normal_iteratorINS6_10device_ptrIiEEEENSD_INSE_IfEEEESG_SI_PmS8_NS6_8equal_toIiEEEE10hipError_tPvRmT2_T3_mT4_T5_T6_T7_T8_P12ihipStream_tbENKUlT_T0_E_clISt17integral_constantIbLb1EES13_EEDaSY_SZ_EUlSY_E_NS1_11comp_targetILNS1_3genE4ELNS1_11target_archE910ELNS1_3gpuE8ELNS1_3repE0EEENS1_30default_config_static_selectorELNS0_4arch9wavefront6targetE0EEEvT1_
    .private_segment_fixed_size: 0
    .sgpr_count:     0
    .sgpr_spill_count: 0
    .symbol:         _ZN7rocprim17ROCPRIM_400000_NS6detail17trampoline_kernelINS0_14default_configENS1_29reduce_by_key_config_selectorIifN6thrust23THRUST_200600_302600_NS4plusIfEEEEZZNS1_33reduce_by_key_impl_wrapped_configILNS1_25lookback_scan_determinismE0ES3_S9_NS6_6detail15normal_iteratorINS6_10device_ptrIiEEEENSD_INSE_IfEEEESG_SI_PmS8_NS6_8equal_toIiEEEE10hipError_tPvRmT2_T3_mT4_T5_T6_T7_T8_P12ihipStream_tbENKUlT_T0_E_clISt17integral_constantIbLb1EES13_EEDaSY_SZ_EUlSY_E_NS1_11comp_targetILNS1_3genE4ELNS1_11target_archE910ELNS1_3gpuE8ELNS1_3repE0EEENS1_30default_config_static_selectorELNS0_4arch9wavefront6targetE0EEEvT1_.kd
    .uniform_work_group_size: 1
    .uses_dynamic_stack: false
    .vgpr_count:     0
    .vgpr_spill_count: 0
    .wavefront_size: 32
    .workgroup_processor_mode: 1
  - .args:
      - .offset:         0
        .size:           120
        .value_kind:     by_value
    .group_segment_fixed_size: 0
    .kernarg_segment_align: 8
    .kernarg_segment_size: 120
    .language:       OpenCL C
    .language_version:
      - 2
      - 0
    .max_flat_workgroup_size: 256
    .name:           _ZN7rocprim17ROCPRIM_400000_NS6detail17trampoline_kernelINS0_14default_configENS1_29reduce_by_key_config_selectorIifN6thrust23THRUST_200600_302600_NS4plusIfEEEEZZNS1_33reduce_by_key_impl_wrapped_configILNS1_25lookback_scan_determinismE0ES3_S9_NS6_6detail15normal_iteratorINS6_10device_ptrIiEEEENSD_INSE_IfEEEESG_SI_PmS8_NS6_8equal_toIiEEEE10hipError_tPvRmT2_T3_mT4_T5_T6_T7_T8_P12ihipStream_tbENKUlT_T0_E_clISt17integral_constantIbLb1EES13_EEDaSY_SZ_EUlSY_E_NS1_11comp_targetILNS1_3genE3ELNS1_11target_archE908ELNS1_3gpuE7ELNS1_3repE0EEENS1_30default_config_static_selectorELNS0_4arch9wavefront6targetE0EEEvT1_
    .private_segment_fixed_size: 0
    .sgpr_count:     0
    .sgpr_spill_count: 0
    .symbol:         _ZN7rocprim17ROCPRIM_400000_NS6detail17trampoline_kernelINS0_14default_configENS1_29reduce_by_key_config_selectorIifN6thrust23THRUST_200600_302600_NS4plusIfEEEEZZNS1_33reduce_by_key_impl_wrapped_configILNS1_25lookback_scan_determinismE0ES3_S9_NS6_6detail15normal_iteratorINS6_10device_ptrIiEEEENSD_INSE_IfEEEESG_SI_PmS8_NS6_8equal_toIiEEEE10hipError_tPvRmT2_T3_mT4_T5_T6_T7_T8_P12ihipStream_tbENKUlT_T0_E_clISt17integral_constantIbLb1EES13_EEDaSY_SZ_EUlSY_E_NS1_11comp_targetILNS1_3genE3ELNS1_11target_archE908ELNS1_3gpuE7ELNS1_3repE0EEENS1_30default_config_static_selectorELNS0_4arch9wavefront6targetE0EEEvT1_.kd
    .uniform_work_group_size: 1
    .uses_dynamic_stack: false
    .vgpr_count:     0
    .vgpr_spill_count: 0
    .wavefront_size: 32
    .workgroup_processor_mode: 1
  - .args:
      - .offset:         0
        .size:           120
        .value_kind:     by_value
    .group_segment_fixed_size: 0
    .kernarg_segment_align: 8
    .kernarg_segment_size: 120
    .language:       OpenCL C
    .language_version:
      - 2
      - 0
    .max_flat_workgroup_size: 256
    .name:           _ZN7rocprim17ROCPRIM_400000_NS6detail17trampoline_kernelINS0_14default_configENS1_29reduce_by_key_config_selectorIifN6thrust23THRUST_200600_302600_NS4plusIfEEEEZZNS1_33reduce_by_key_impl_wrapped_configILNS1_25lookback_scan_determinismE0ES3_S9_NS6_6detail15normal_iteratorINS6_10device_ptrIiEEEENSD_INSE_IfEEEESG_SI_PmS8_NS6_8equal_toIiEEEE10hipError_tPvRmT2_T3_mT4_T5_T6_T7_T8_P12ihipStream_tbENKUlT_T0_E_clISt17integral_constantIbLb1EES13_EEDaSY_SZ_EUlSY_E_NS1_11comp_targetILNS1_3genE2ELNS1_11target_archE906ELNS1_3gpuE6ELNS1_3repE0EEENS1_30default_config_static_selectorELNS0_4arch9wavefront6targetE0EEEvT1_
    .private_segment_fixed_size: 0
    .sgpr_count:     0
    .sgpr_spill_count: 0
    .symbol:         _ZN7rocprim17ROCPRIM_400000_NS6detail17trampoline_kernelINS0_14default_configENS1_29reduce_by_key_config_selectorIifN6thrust23THRUST_200600_302600_NS4plusIfEEEEZZNS1_33reduce_by_key_impl_wrapped_configILNS1_25lookback_scan_determinismE0ES3_S9_NS6_6detail15normal_iteratorINS6_10device_ptrIiEEEENSD_INSE_IfEEEESG_SI_PmS8_NS6_8equal_toIiEEEE10hipError_tPvRmT2_T3_mT4_T5_T6_T7_T8_P12ihipStream_tbENKUlT_T0_E_clISt17integral_constantIbLb1EES13_EEDaSY_SZ_EUlSY_E_NS1_11comp_targetILNS1_3genE2ELNS1_11target_archE906ELNS1_3gpuE6ELNS1_3repE0EEENS1_30default_config_static_selectorELNS0_4arch9wavefront6targetE0EEEvT1_.kd
    .uniform_work_group_size: 1
    .uses_dynamic_stack: false
    .vgpr_count:     0
    .vgpr_spill_count: 0
    .wavefront_size: 32
    .workgroup_processor_mode: 1
  - .args:
      - .offset:         0
        .size:           120
        .value_kind:     by_value
    .group_segment_fixed_size: 0
    .kernarg_segment_align: 8
    .kernarg_segment_size: 120
    .language:       OpenCL C
    .language_version:
      - 2
      - 0
    .max_flat_workgroup_size: 256
    .name:           _ZN7rocprim17ROCPRIM_400000_NS6detail17trampoline_kernelINS0_14default_configENS1_29reduce_by_key_config_selectorIifN6thrust23THRUST_200600_302600_NS4plusIfEEEEZZNS1_33reduce_by_key_impl_wrapped_configILNS1_25lookback_scan_determinismE0ES3_S9_NS6_6detail15normal_iteratorINS6_10device_ptrIiEEEENSD_INSE_IfEEEESG_SI_PmS8_NS6_8equal_toIiEEEE10hipError_tPvRmT2_T3_mT4_T5_T6_T7_T8_P12ihipStream_tbENKUlT_T0_E_clISt17integral_constantIbLb1EES13_EEDaSY_SZ_EUlSY_E_NS1_11comp_targetILNS1_3genE10ELNS1_11target_archE1201ELNS1_3gpuE5ELNS1_3repE0EEENS1_30default_config_static_selectorELNS0_4arch9wavefront6targetE0EEEvT1_
    .private_segment_fixed_size: 0
    .sgpr_count:     0
    .sgpr_spill_count: 0
    .symbol:         _ZN7rocprim17ROCPRIM_400000_NS6detail17trampoline_kernelINS0_14default_configENS1_29reduce_by_key_config_selectorIifN6thrust23THRUST_200600_302600_NS4plusIfEEEEZZNS1_33reduce_by_key_impl_wrapped_configILNS1_25lookback_scan_determinismE0ES3_S9_NS6_6detail15normal_iteratorINS6_10device_ptrIiEEEENSD_INSE_IfEEEESG_SI_PmS8_NS6_8equal_toIiEEEE10hipError_tPvRmT2_T3_mT4_T5_T6_T7_T8_P12ihipStream_tbENKUlT_T0_E_clISt17integral_constantIbLb1EES13_EEDaSY_SZ_EUlSY_E_NS1_11comp_targetILNS1_3genE10ELNS1_11target_archE1201ELNS1_3gpuE5ELNS1_3repE0EEENS1_30default_config_static_selectorELNS0_4arch9wavefront6targetE0EEEvT1_.kd
    .uniform_work_group_size: 1
    .uses_dynamic_stack: false
    .vgpr_count:     0
    .vgpr_spill_count: 0
    .wavefront_size: 32
    .workgroup_processor_mode: 1
  - .args:
      - .offset:         0
        .size:           120
        .value_kind:     by_value
    .group_segment_fixed_size: 0
    .kernarg_segment_align: 8
    .kernarg_segment_size: 120
    .language:       OpenCL C
    .language_version:
      - 2
      - 0
    .max_flat_workgroup_size: 256
    .name:           _ZN7rocprim17ROCPRIM_400000_NS6detail17trampoline_kernelINS0_14default_configENS1_29reduce_by_key_config_selectorIifN6thrust23THRUST_200600_302600_NS4plusIfEEEEZZNS1_33reduce_by_key_impl_wrapped_configILNS1_25lookback_scan_determinismE0ES3_S9_NS6_6detail15normal_iteratorINS6_10device_ptrIiEEEENSD_INSE_IfEEEESG_SI_PmS8_NS6_8equal_toIiEEEE10hipError_tPvRmT2_T3_mT4_T5_T6_T7_T8_P12ihipStream_tbENKUlT_T0_E_clISt17integral_constantIbLb1EES13_EEDaSY_SZ_EUlSY_E_NS1_11comp_targetILNS1_3genE10ELNS1_11target_archE1200ELNS1_3gpuE4ELNS1_3repE0EEENS1_30default_config_static_selectorELNS0_4arch9wavefront6targetE0EEEvT1_
    .private_segment_fixed_size: 0
    .sgpr_count:     0
    .sgpr_spill_count: 0
    .symbol:         _ZN7rocprim17ROCPRIM_400000_NS6detail17trampoline_kernelINS0_14default_configENS1_29reduce_by_key_config_selectorIifN6thrust23THRUST_200600_302600_NS4plusIfEEEEZZNS1_33reduce_by_key_impl_wrapped_configILNS1_25lookback_scan_determinismE0ES3_S9_NS6_6detail15normal_iteratorINS6_10device_ptrIiEEEENSD_INSE_IfEEEESG_SI_PmS8_NS6_8equal_toIiEEEE10hipError_tPvRmT2_T3_mT4_T5_T6_T7_T8_P12ihipStream_tbENKUlT_T0_E_clISt17integral_constantIbLb1EES13_EEDaSY_SZ_EUlSY_E_NS1_11comp_targetILNS1_3genE10ELNS1_11target_archE1200ELNS1_3gpuE4ELNS1_3repE0EEENS1_30default_config_static_selectorELNS0_4arch9wavefront6targetE0EEEvT1_.kd
    .uniform_work_group_size: 1
    .uses_dynamic_stack: false
    .vgpr_count:     0
    .vgpr_spill_count: 0
    .wavefront_size: 32
    .workgroup_processor_mode: 1
  - .args:
      - .offset:         0
        .size:           120
        .value_kind:     by_value
    .group_segment_fixed_size: 0
    .kernarg_segment_align: 8
    .kernarg_segment_size: 120
    .language:       OpenCL C
    .language_version:
      - 2
      - 0
    .max_flat_workgroup_size: 256
    .name:           _ZN7rocprim17ROCPRIM_400000_NS6detail17trampoline_kernelINS0_14default_configENS1_29reduce_by_key_config_selectorIifN6thrust23THRUST_200600_302600_NS4plusIfEEEEZZNS1_33reduce_by_key_impl_wrapped_configILNS1_25lookback_scan_determinismE0ES3_S9_NS6_6detail15normal_iteratorINS6_10device_ptrIiEEEENSD_INSE_IfEEEESG_SI_PmS8_NS6_8equal_toIiEEEE10hipError_tPvRmT2_T3_mT4_T5_T6_T7_T8_P12ihipStream_tbENKUlT_T0_E_clISt17integral_constantIbLb1EES13_EEDaSY_SZ_EUlSY_E_NS1_11comp_targetILNS1_3genE9ELNS1_11target_archE1100ELNS1_3gpuE3ELNS1_3repE0EEENS1_30default_config_static_selectorELNS0_4arch9wavefront6targetE0EEEvT1_
    .private_segment_fixed_size: 0
    .sgpr_count:     0
    .sgpr_spill_count: 0
    .symbol:         _ZN7rocprim17ROCPRIM_400000_NS6detail17trampoline_kernelINS0_14default_configENS1_29reduce_by_key_config_selectorIifN6thrust23THRUST_200600_302600_NS4plusIfEEEEZZNS1_33reduce_by_key_impl_wrapped_configILNS1_25lookback_scan_determinismE0ES3_S9_NS6_6detail15normal_iteratorINS6_10device_ptrIiEEEENSD_INSE_IfEEEESG_SI_PmS8_NS6_8equal_toIiEEEE10hipError_tPvRmT2_T3_mT4_T5_T6_T7_T8_P12ihipStream_tbENKUlT_T0_E_clISt17integral_constantIbLb1EES13_EEDaSY_SZ_EUlSY_E_NS1_11comp_targetILNS1_3genE9ELNS1_11target_archE1100ELNS1_3gpuE3ELNS1_3repE0EEENS1_30default_config_static_selectorELNS0_4arch9wavefront6targetE0EEEvT1_.kd
    .uniform_work_group_size: 1
    .uses_dynamic_stack: false
    .vgpr_count:     0
    .vgpr_spill_count: 0
    .wavefront_size: 32
    .workgroup_processor_mode: 1
  - .args:
      - .offset:         0
        .size:           120
        .value_kind:     by_value
    .group_segment_fixed_size: 0
    .kernarg_segment_align: 8
    .kernarg_segment_size: 120
    .language:       OpenCL C
    .language_version:
      - 2
      - 0
    .max_flat_workgroup_size: 256
    .name:           _ZN7rocprim17ROCPRIM_400000_NS6detail17trampoline_kernelINS0_14default_configENS1_29reduce_by_key_config_selectorIifN6thrust23THRUST_200600_302600_NS4plusIfEEEEZZNS1_33reduce_by_key_impl_wrapped_configILNS1_25lookback_scan_determinismE0ES3_S9_NS6_6detail15normal_iteratorINS6_10device_ptrIiEEEENSD_INSE_IfEEEESG_SI_PmS8_NS6_8equal_toIiEEEE10hipError_tPvRmT2_T3_mT4_T5_T6_T7_T8_P12ihipStream_tbENKUlT_T0_E_clISt17integral_constantIbLb1EES13_EEDaSY_SZ_EUlSY_E_NS1_11comp_targetILNS1_3genE8ELNS1_11target_archE1030ELNS1_3gpuE2ELNS1_3repE0EEENS1_30default_config_static_selectorELNS0_4arch9wavefront6targetE0EEEvT1_
    .private_segment_fixed_size: 0
    .sgpr_count:     0
    .sgpr_spill_count: 0
    .symbol:         _ZN7rocprim17ROCPRIM_400000_NS6detail17trampoline_kernelINS0_14default_configENS1_29reduce_by_key_config_selectorIifN6thrust23THRUST_200600_302600_NS4plusIfEEEEZZNS1_33reduce_by_key_impl_wrapped_configILNS1_25lookback_scan_determinismE0ES3_S9_NS6_6detail15normal_iteratorINS6_10device_ptrIiEEEENSD_INSE_IfEEEESG_SI_PmS8_NS6_8equal_toIiEEEE10hipError_tPvRmT2_T3_mT4_T5_T6_T7_T8_P12ihipStream_tbENKUlT_T0_E_clISt17integral_constantIbLb1EES13_EEDaSY_SZ_EUlSY_E_NS1_11comp_targetILNS1_3genE8ELNS1_11target_archE1030ELNS1_3gpuE2ELNS1_3repE0EEENS1_30default_config_static_selectorELNS0_4arch9wavefront6targetE0EEEvT1_.kd
    .uniform_work_group_size: 1
    .uses_dynamic_stack: false
    .vgpr_count:     0
    .vgpr_spill_count: 0
    .wavefront_size: 32
    .workgroup_processor_mode: 1
  - .args:
      - .address_space:  global
        .offset:         0
        .size:           8
        .value_kind:     global_buffer
      - .offset:         8
        .size:           4
        .value_kind:     by_value
      - .offset:         12
        .size:           1
        .value_kind:     by_value
      - .offset:         16
        .size:           4
        .value_kind:     by_value
      - .address_space:  global
        .offset:         24
        .size:           8
        .value_kind:     global_buffer
      - .address_space:  global
        .offset:         32
        .size:           8
        .value_kind:     global_buffer
      - .offset:         40
        .size:           1
        .value_kind:     by_value
      - .offset:         48
        .size:           4
        .value_kind:     hidden_block_count_x
      - .offset:         52
        .size:           4
        .value_kind:     hidden_block_count_y
      - .offset:         56
        .size:           4
        .value_kind:     hidden_block_count_z
      - .offset:         60
        .size:           2
        .value_kind:     hidden_group_size_x
      - .offset:         62
        .size:           2
        .value_kind:     hidden_group_size_y
      - .offset:         64
        .size:           2
        .value_kind:     hidden_group_size_z
      - .offset:         66
        .size:           2
        .value_kind:     hidden_remainder_x
      - .offset:         68
        .size:           2
        .value_kind:     hidden_remainder_y
      - .offset:         70
        .size:           2
        .value_kind:     hidden_remainder_z
      - .offset:         88
        .size:           8
        .value_kind:     hidden_global_offset_x
      - .offset:         96
        .size:           8
        .value_kind:     hidden_global_offset_y
      - .offset:         104
        .size:           8
        .value_kind:     hidden_global_offset_z
      - .offset:         112
        .size:           2
        .value_kind:     hidden_grid_dims
    .group_segment_fixed_size: 0
    .kernarg_segment_align: 8
    .kernarg_segment_size: 304
    .language:       OpenCL C
    .language_version:
      - 2
      - 0
    .max_flat_workgroup_size: 256
    .name:           _ZN7rocprim17ROCPRIM_400000_NS6detail25reduce_by_key_init_kernelINS1_19lookback_scan_stateINS0_5tupleIJjfEEELb1ELb1EEEfNS1_16block_id_wrapperIjLb0EEEEEvT_jbjPmPT0_T1_
    .private_segment_fixed_size: 0
    .sgpr_count:     18
    .sgpr_spill_count: 0
    .symbol:         _ZN7rocprim17ROCPRIM_400000_NS6detail25reduce_by_key_init_kernelINS1_19lookback_scan_stateINS0_5tupleIJjfEEELb1ELb1EEEfNS1_16block_id_wrapperIjLb0EEEEEvT_jbjPmPT0_T1_.kd
    .uniform_work_group_size: 1
    .uses_dynamic_stack: false
    .vgpr_count:     12
    .vgpr_spill_count: 0
    .wavefront_size: 32
    .workgroup_processor_mode: 1
  - .args:
      - .offset:         0
        .size:           120
        .value_kind:     by_value
    .group_segment_fixed_size: 0
    .kernarg_segment_align: 8
    .kernarg_segment_size: 120
    .language:       OpenCL C
    .language_version:
      - 2
      - 0
    .max_flat_workgroup_size: 256
    .name:           _ZN7rocprim17ROCPRIM_400000_NS6detail17trampoline_kernelINS0_14default_configENS1_29reduce_by_key_config_selectorIifN6thrust23THRUST_200600_302600_NS4plusIfEEEEZZNS1_33reduce_by_key_impl_wrapped_configILNS1_25lookback_scan_determinismE0ES3_S9_NS6_6detail15normal_iteratorINS6_10device_ptrIiEEEENSD_INSE_IfEEEESG_SI_PmS8_NS6_8equal_toIiEEEE10hipError_tPvRmT2_T3_mT4_T5_T6_T7_T8_P12ihipStream_tbENKUlT_T0_E_clISt17integral_constantIbLb1EES12_IbLb0EEEEDaSY_SZ_EUlSY_E_NS1_11comp_targetILNS1_3genE0ELNS1_11target_archE4294967295ELNS1_3gpuE0ELNS1_3repE0EEENS1_30default_config_static_selectorELNS0_4arch9wavefront6targetE0EEEvT1_
    .private_segment_fixed_size: 0
    .sgpr_count:     0
    .sgpr_spill_count: 0
    .symbol:         _ZN7rocprim17ROCPRIM_400000_NS6detail17trampoline_kernelINS0_14default_configENS1_29reduce_by_key_config_selectorIifN6thrust23THRUST_200600_302600_NS4plusIfEEEEZZNS1_33reduce_by_key_impl_wrapped_configILNS1_25lookback_scan_determinismE0ES3_S9_NS6_6detail15normal_iteratorINS6_10device_ptrIiEEEENSD_INSE_IfEEEESG_SI_PmS8_NS6_8equal_toIiEEEE10hipError_tPvRmT2_T3_mT4_T5_T6_T7_T8_P12ihipStream_tbENKUlT_T0_E_clISt17integral_constantIbLb1EES12_IbLb0EEEEDaSY_SZ_EUlSY_E_NS1_11comp_targetILNS1_3genE0ELNS1_11target_archE4294967295ELNS1_3gpuE0ELNS1_3repE0EEENS1_30default_config_static_selectorELNS0_4arch9wavefront6targetE0EEEvT1_.kd
    .uniform_work_group_size: 1
    .uses_dynamic_stack: false
    .vgpr_count:     0
    .vgpr_spill_count: 0
    .wavefront_size: 32
    .workgroup_processor_mode: 1
  - .args:
      - .offset:         0
        .size:           120
        .value_kind:     by_value
    .group_segment_fixed_size: 0
    .kernarg_segment_align: 8
    .kernarg_segment_size: 120
    .language:       OpenCL C
    .language_version:
      - 2
      - 0
    .max_flat_workgroup_size: 256
    .name:           _ZN7rocprim17ROCPRIM_400000_NS6detail17trampoline_kernelINS0_14default_configENS1_29reduce_by_key_config_selectorIifN6thrust23THRUST_200600_302600_NS4plusIfEEEEZZNS1_33reduce_by_key_impl_wrapped_configILNS1_25lookback_scan_determinismE0ES3_S9_NS6_6detail15normal_iteratorINS6_10device_ptrIiEEEENSD_INSE_IfEEEESG_SI_PmS8_NS6_8equal_toIiEEEE10hipError_tPvRmT2_T3_mT4_T5_T6_T7_T8_P12ihipStream_tbENKUlT_T0_E_clISt17integral_constantIbLb1EES12_IbLb0EEEEDaSY_SZ_EUlSY_E_NS1_11comp_targetILNS1_3genE5ELNS1_11target_archE942ELNS1_3gpuE9ELNS1_3repE0EEENS1_30default_config_static_selectorELNS0_4arch9wavefront6targetE0EEEvT1_
    .private_segment_fixed_size: 0
    .sgpr_count:     0
    .sgpr_spill_count: 0
    .symbol:         _ZN7rocprim17ROCPRIM_400000_NS6detail17trampoline_kernelINS0_14default_configENS1_29reduce_by_key_config_selectorIifN6thrust23THRUST_200600_302600_NS4plusIfEEEEZZNS1_33reduce_by_key_impl_wrapped_configILNS1_25lookback_scan_determinismE0ES3_S9_NS6_6detail15normal_iteratorINS6_10device_ptrIiEEEENSD_INSE_IfEEEESG_SI_PmS8_NS6_8equal_toIiEEEE10hipError_tPvRmT2_T3_mT4_T5_T6_T7_T8_P12ihipStream_tbENKUlT_T0_E_clISt17integral_constantIbLb1EES12_IbLb0EEEEDaSY_SZ_EUlSY_E_NS1_11comp_targetILNS1_3genE5ELNS1_11target_archE942ELNS1_3gpuE9ELNS1_3repE0EEENS1_30default_config_static_selectorELNS0_4arch9wavefront6targetE0EEEvT1_.kd
    .uniform_work_group_size: 1
    .uses_dynamic_stack: false
    .vgpr_count:     0
    .vgpr_spill_count: 0
    .wavefront_size: 32
    .workgroup_processor_mode: 1
  - .args:
      - .offset:         0
        .size:           120
        .value_kind:     by_value
    .group_segment_fixed_size: 0
    .kernarg_segment_align: 8
    .kernarg_segment_size: 120
    .language:       OpenCL C
    .language_version:
      - 2
      - 0
    .max_flat_workgroup_size: 256
    .name:           _ZN7rocprim17ROCPRIM_400000_NS6detail17trampoline_kernelINS0_14default_configENS1_29reduce_by_key_config_selectorIifN6thrust23THRUST_200600_302600_NS4plusIfEEEEZZNS1_33reduce_by_key_impl_wrapped_configILNS1_25lookback_scan_determinismE0ES3_S9_NS6_6detail15normal_iteratorINS6_10device_ptrIiEEEENSD_INSE_IfEEEESG_SI_PmS8_NS6_8equal_toIiEEEE10hipError_tPvRmT2_T3_mT4_T5_T6_T7_T8_P12ihipStream_tbENKUlT_T0_E_clISt17integral_constantIbLb1EES12_IbLb0EEEEDaSY_SZ_EUlSY_E_NS1_11comp_targetILNS1_3genE4ELNS1_11target_archE910ELNS1_3gpuE8ELNS1_3repE0EEENS1_30default_config_static_selectorELNS0_4arch9wavefront6targetE0EEEvT1_
    .private_segment_fixed_size: 0
    .sgpr_count:     0
    .sgpr_spill_count: 0
    .symbol:         _ZN7rocprim17ROCPRIM_400000_NS6detail17trampoline_kernelINS0_14default_configENS1_29reduce_by_key_config_selectorIifN6thrust23THRUST_200600_302600_NS4plusIfEEEEZZNS1_33reduce_by_key_impl_wrapped_configILNS1_25lookback_scan_determinismE0ES3_S9_NS6_6detail15normal_iteratorINS6_10device_ptrIiEEEENSD_INSE_IfEEEESG_SI_PmS8_NS6_8equal_toIiEEEE10hipError_tPvRmT2_T3_mT4_T5_T6_T7_T8_P12ihipStream_tbENKUlT_T0_E_clISt17integral_constantIbLb1EES12_IbLb0EEEEDaSY_SZ_EUlSY_E_NS1_11comp_targetILNS1_3genE4ELNS1_11target_archE910ELNS1_3gpuE8ELNS1_3repE0EEENS1_30default_config_static_selectorELNS0_4arch9wavefront6targetE0EEEvT1_.kd
    .uniform_work_group_size: 1
    .uses_dynamic_stack: false
    .vgpr_count:     0
    .vgpr_spill_count: 0
    .wavefront_size: 32
    .workgroup_processor_mode: 1
  - .args:
      - .offset:         0
        .size:           120
        .value_kind:     by_value
    .group_segment_fixed_size: 0
    .kernarg_segment_align: 8
    .kernarg_segment_size: 120
    .language:       OpenCL C
    .language_version:
      - 2
      - 0
    .max_flat_workgroup_size: 256
    .name:           _ZN7rocprim17ROCPRIM_400000_NS6detail17trampoline_kernelINS0_14default_configENS1_29reduce_by_key_config_selectorIifN6thrust23THRUST_200600_302600_NS4plusIfEEEEZZNS1_33reduce_by_key_impl_wrapped_configILNS1_25lookback_scan_determinismE0ES3_S9_NS6_6detail15normal_iteratorINS6_10device_ptrIiEEEENSD_INSE_IfEEEESG_SI_PmS8_NS6_8equal_toIiEEEE10hipError_tPvRmT2_T3_mT4_T5_T6_T7_T8_P12ihipStream_tbENKUlT_T0_E_clISt17integral_constantIbLb1EES12_IbLb0EEEEDaSY_SZ_EUlSY_E_NS1_11comp_targetILNS1_3genE3ELNS1_11target_archE908ELNS1_3gpuE7ELNS1_3repE0EEENS1_30default_config_static_selectorELNS0_4arch9wavefront6targetE0EEEvT1_
    .private_segment_fixed_size: 0
    .sgpr_count:     0
    .sgpr_spill_count: 0
    .symbol:         _ZN7rocprim17ROCPRIM_400000_NS6detail17trampoline_kernelINS0_14default_configENS1_29reduce_by_key_config_selectorIifN6thrust23THRUST_200600_302600_NS4plusIfEEEEZZNS1_33reduce_by_key_impl_wrapped_configILNS1_25lookback_scan_determinismE0ES3_S9_NS6_6detail15normal_iteratorINS6_10device_ptrIiEEEENSD_INSE_IfEEEESG_SI_PmS8_NS6_8equal_toIiEEEE10hipError_tPvRmT2_T3_mT4_T5_T6_T7_T8_P12ihipStream_tbENKUlT_T0_E_clISt17integral_constantIbLb1EES12_IbLb0EEEEDaSY_SZ_EUlSY_E_NS1_11comp_targetILNS1_3genE3ELNS1_11target_archE908ELNS1_3gpuE7ELNS1_3repE0EEENS1_30default_config_static_selectorELNS0_4arch9wavefront6targetE0EEEvT1_.kd
    .uniform_work_group_size: 1
    .uses_dynamic_stack: false
    .vgpr_count:     0
    .vgpr_spill_count: 0
    .wavefront_size: 32
    .workgroup_processor_mode: 1
  - .args:
      - .offset:         0
        .size:           120
        .value_kind:     by_value
    .group_segment_fixed_size: 0
    .kernarg_segment_align: 8
    .kernarg_segment_size: 120
    .language:       OpenCL C
    .language_version:
      - 2
      - 0
    .max_flat_workgroup_size: 256
    .name:           _ZN7rocprim17ROCPRIM_400000_NS6detail17trampoline_kernelINS0_14default_configENS1_29reduce_by_key_config_selectorIifN6thrust23THRUST_200600_302600_NS4plusIfEEEEZZNS1_33reduce_by_key_impl_wrapped_configILNS1_25lookback_scan_determinismE0ES3_S9_NS6_6detail15normal_iteratorINS6_10device_ptrIiEEEENSD_INSE_IfEEEESG_SI_PmS8_NS6_8equal_toIiEEEE10hipError_tPvRmT2_T3_mT4_T5_T6_T7_T8_P12ihipStream_tbENKUlT_T0_E_clISt17integral_constantIbLb1EES12_IbLb0EEEEDaSY_SZ_EUlSY_E_NS1_11comp_targetILNS1_3genE2ELNS1_11target_archE906ELNS1_3gpuE6ELNS1_3repE0EEENS1_30default_config_static_selectorELNS0_4arch9wavefront6targetE0EEEvT1_
    .private_segment_fixed_size: 0
    .sgpr_count:     0
    .sgpr_spill_count: 0
    .symbol:         _ZN7rocprim17ROCPRIM_400000_NS6detail17trampoline_kernelINS0_14default_configENS1_29reduce_by_key_config_selectorIifN6thrust23THRUST_200600_302600_NS4plusIfEEEEZZNS1_33reduce_by_key_impl_wrapped_configILNS1_25lookback_scan_determinismE0ES3_S9_NS6_6detail15normal_iteratorINS6_10device_ptrIiEEEENSD_INSE_IfEEEESG_SI_PmS8_NS6_8equal_toIiEEEE10hipError_tPvRmT2_T3_mT4_T5_T6_T7_T8_P12ihipStream_tbENKUlT_T0_E_clISt17integral_constantIbLb1EES12_IbLb0EEEEDaSY_SZ_EUlSY_E_NS1_11comp_targetILNS1_3genE2ELNS1_11target_archE906ELNS1_3gpuE6ELNS1_3repE0EEENS1_30default_config_static_selectorELNS0_4arch9wavefront6targetE0EEEvT1_.kd
    .uniform_work_group_size: 1
    .uses_dynamic_stack: false
    .vgpr_count:     0
    .vgpr_spill_count: 0
    .wavefront_size: 32
    .workgroup_processor_mode: 1
  - .args:
      - .offset:         0
        .size:           120
        .value_kind:     by_value
    .group_segment_fixed_size: 0
    .kernarg_segment_align: 8
    .kernarg_segment_size: 120
    .language:       OpenCL C
    .language_version:
      - 2
      - 0
    .max_flat_workgroup_size: 256
    .name:           _ZN7rocprim17ROCPRIM_400000_NS6detail17trampoline_kernelINS0_14default_configENS1_29reduce_by_key_config_selectorIifN6thrust23THRUST_200600_302600_NS4plusIfEEEEZZNS1_33reduce_by_key_impl_wrapped_configILNS1_25lookback_scan_determinismE0ES3_S9_NS6_6detail15normal_iteratorINS6_10device_ptrIiEEEENSD_INSE_IfEEEESG_SI_PmS8_NS6_8equal_toIiEEEE10hipError_tPvRmT2_T3_mT4_T5_T6_T7_T8_P12ihipStream_tbENKUlT_T0_E_clISt17integral_constantIbLb1EES12_IbLb0EEEEDaSY_SZ_EUlSY_E_NS1_11comp_targetILNS1_3genE10ELNS1_11target_archE1201ELNS1_3gpuE5ELNS1_3repE0EEENS1_30default_config_static_selectorELNS0_4arch9wavefront6targetE0EEEvT1_
    .private_segment_fixed_size: 0
    .sgpr_count:     0
    .sgpr_spill_count: 0
    .symbol:         _ZN7rocprim17ROCPRIM_400000_NS6detail17trampoline_kernelINS0_14default_configENS1_29reduce_by_key_config_selectorIifN6thrust23THRUST_200600_302600_NS4plusIfEEEEZZNS1_33reduce_by_key_impl_wrapped_configILNS1_25lookback_scan_determinismE0ES3_S9_NS6_6detail15normal_iteratorINS6_10device_ptrIiEEEENSD_INSE_IfEEEESG_SI_PmS8_NS6_8equal_toIiEEEE10hipError_tPvRmT2_T3_mT4_T5_T6_T7_T8_P12ihipStream_tbENKUlT_T0_E_clISt17integral_constantIbLb1EES12_IbLb0EEEEDaSY_SZ_EUlSY_E_NS1_11comp_targetILNS1_3genE10ELNS1_11target_archE1201ELNS1_3gpuE5ELNS1_3repE0EEENS1_30default_config_static_selectorELNS0_4arch9wavefront6targetE0EEEvT1_.kd
    .uniform_work_group_size: 1
    .uses_dynamic_stack: false
    .vgpr_count:     0
    .vgpr_spill_count: 0
    .wavefront_size: 32
    .workgroup_processor_mode: 1
  - .args:
      - .offset:         0
        .size:           120
        .value_kind:     by_value
    .group_segment_fixed_size: 0
    .kernarg_segment_align: 8
    .kernarg_segment_size: 120
    .language:       OpenCL C
    .language_version:
      - 2
      - 0
    .max_flat_workgroup_size: 256
    .name:           _ZN7rocprim17ROCPRIM_400000_NS6detail17trampoline_kernelINS0_14default_configENS1_29reduce_by_key_config_selectorIifN6thrust23THRUST_200600_302600_NS4plusIfEEEEZZNS1_33reduce_by_key_impl_wrapped_configILNS1_25lookback_scan_determinismE0ES3_S9_NS6_6detail15normal_iteratorINS6_10device_ptrIiEEEENSD_INSE_IfEEEESG_SI_PmS8_NS6_8equal_toIiEEEE10hipError_tPvRmT2_T3_mT4_T5_T6_T7_T8_P12ihipStream_tbENKUlT_T0_E_clISt17integral_constantIbLb1EES12_IbLb0EEEEDaSY_SZ_EUlSY_E_NS1_11comp_targetILNS1_3genE10ELNS1_11target_archE1200ELNS1_3gpuE4ELNS1_3repE0EEENS1_30default_config_static_selectorELNS0_4arch9wavefront6targetE0EEEvT1_
    .private_segment_fixed_size: 0
    .sgpr_count:     0
    .sgpr_spill_count: 0
    .symbol:         _ZN7rocprim17ROCPRIM_400000_NS6detail17trampoline_kernelINS0_14default_configENS1_29reduce_by_key_config_selectorIifN6thrust23THRUST_200600_302600_NS4plusIfEEEEZZNS1_33reduce_by_key_impl_wrapped_configILNS1_25lookback_scan_determinismE0ES3_S9_NS6_6detail15normal_iteratorINS6_10device_ptrIiEEEENSD_INSE_IfEEEESG_SI_PmS8_NS6_8equal_toIiEEEE10hipError_tPvRmT2_T3_mT4_T5_T6_T7_T8_P12ihipStream_tbENKUlT_T0_E_clISt17integral_constantIbLb1EES12_IbLb0EEEEDaSY_SZ_EUlSY_E_NS1_11comp_targetILNS1_3genE10ELNS1_11target_archE1200ELNS1_3gpuE4ELNS1_3repE0EEENS1_30default_config_static_selectorELNS0_4arch9wavefront6targetE0EEEvT1_.kd
    .uniform_work_group_size: 1
    .uses_dynamic_stack: false
    .vgpr_count:     0
    .vgpr_spill_count: 0
    .wavefront_size: 32
    .workgroup_processor_mode: 1
  - .args:
      - .offset:         0
        .size:           120
        .value_kind:     by_value
    .group_segment_fixed_size: 0
    .kernarg_segment_align: 8
    .kernarg_segment_size: 120
    .language:       OpenCL C
    .language_version:
      - 2
      - 0
    .max_flat_workgroup_size: 256
    .name:           _ZN7rocprim17ROCPRIM_400000_NS6detail17trampoline_kernelINS0_14default_configENS1_29reduce_by_key_config_selectorIifN6thrust23THRUST_200600_302600_NS4plusIfEEEEZZNS1_33reduce_by_key_impl_wrapped_configILNS1_25lookback_scan_determinismE0ES3_S9_NS6_6detail15normal_iteratorINS6_10device_ptrIiEEEENSD_INSE_IfEEEESG_SI_PmS8_NS6_8equal_toIiEEEE10hipError_tPvRmT2_T3_mT4_T5_T6_T7_T8_P12ihipStream_tbENKUlT_T0_E_clISt17integral_constantIbLb1EES12_IbLb0EEEEDaSY_SZ_EUlSY_E_NS1_11comp_targetILNS1_3genE9ELNS1_11target_archE1100ELNS1_3gpuE3ELNS1_3repE0EEENS1_30default_config_static_selectorELNS0_4arch9wavefront6targetE0EEEvT1_
    .private_segment_fixed_size: 0
    .sgpr_count:     0
    .sgpr_spill_count: 0
    .symbol:         _ZN7rocprim17ROCPRIM_400000_NS6detail17trampoline_kernelINS0_14default_configENS1_29reduce_by_key_config_selectorIifN6thrust23THRUST_200600_302600_NS4plusIfEEEEZZNS1_33reduce_by_key_impl_wrapped_configILNS1_25lookback_scan_determinismE0ES3_S9_NS6_6detail15normal_iteratorINS6_10device_ptrIiEEEENSD_INSE_IfEEEESG_SI_PmS8_NS6_8equal_toIiEEEE10hipError_tPvRmT2_T3_mT4_T5_T6_T7_T8_P12ihipStream_tbENKUlT_T0_E_clISt17integral_constantIbLb1EES12_IbLb0EEEEDaSY_SZ_EUlSY_E_NS1_11comp_targetILNS1_3genE9ELNS1_11target_archE1100ELNS1_3gpuE3ELNS1_3repE0EEENS1_30default_config_static_selectorELNS0_4arch9wavefront6targetE0EEEvT1_.kd
    .uniform_work_group_size: 1
    .uses_dynamic_stack: false
    .vgpr_count:     0
    .vgpr_spill_count: 0
    .wavefront_size: 32
    .workgroup_processor_mode: 1
  - .args:
      - .offset:         0
        .size:           120
        .value_kind:     by_value
    .group_segment_fixed_size: 0
    .kernarg_segment_align: 8
    .kernarg_segment_size: 120
    .language:       OpenCL C
    .language_version:
      - 2
      - 0
    .max_flat_workgroup_size: 256
    .name:           _ZN7rocprim17ROCPRIM_400000_NS6detail17trampoline_kernelINS0_14default_configENS1_29reduce_by_key_config_selectorIifN6thrust23THRUST_200600_302600_NS4plusIfEEEEZZNS1_33reduce_by_key_impl_wrapped_configILNS1_25lookback_scan_determinismE0ES3_S9_NS6_6detail15normal_iteratorINS6_10device_ptrIiEEEENSD_INSE_IfEEEESG_SI_PmS8_NS6_8equal_toIiEEEE10hipError_tPvRmT2_T3_mT4_T5_T6_T7_T8_P12ihipStream_tbENKUlT_T0_E_clISt17integral_constantIbLb1EES12_IbLb0EEEEDaSY_SZ_EUlSY_E_NS1_11comp_targetILNS1_3genE8ELNS1_11target_archE1030ELNS1_3gpuE2ELNS1_3repE0EEENS1_30default_config_static_selectorELNS0_4arch9wavefront6targetE0EEEvT1_
    .private_segment_fixed_size: 0
    .sgpr_count:     0
    .sgpr_spill_count: 0
    .symbol:         _ZN7rocprim17ROCPRIM_400000_NS6detail17trampoline_kernelINS0_14default_configENS1_29reduce_by_key_config_selectorIifN6thrust23THRUST_200600_302600_NS4plusIfEEEEZZNS1_33reduce_by_key_impl_wrapped_configILNS1_25lookback_scan_determinismE0ES3_S9_NS6_6detail15normal_iteratorINS6_10device_ptrIiEEEENSD_INSE_IfEEEESG_SI_PmS8_NS6_8equal_toIiEEEE10hipError_tPvRmT2_T3_mT4_T5_T6_T7_T8_P12ihipStream_tbENKUlT_T0_E_clISt17integral_constantIbLb1EES12_IbLb0EEEEDaSY_SZ_EUlSY_E_NS1_11comp_targetILNS1_3genE8ELNS1_11target_archE1030ELNS1_3gpuE2ELNS1_3repE0EEENS1_30default_config_static_selectorELNS0_4arch9wavefront6targetE0EEEvT1_.kd
    .uniform_work_group_size: 1
    .uses_dynamic_stack: false
    .vgpr_count:     0
    .vgpr_spill_count: 0
    .wavefront_size: 32
    .workgroup_processor_mode: 1
  - .args:
      - .address_space:  global
        .offset:         0
        .size:           8
        .value_kind:     global_buffer
      - .offset:         8
        .size:           4
        .value_kind:     by_value
      - .offset:         12
        .size:           1
        .value_kind:     by_value
      - .offset:         16
        .size:           4
        .value_kind:     by_value
      - .address_space:  global
        .offset:         24
        .size:           8
        .value_kind:     global_buffer
      - .address_space:  global
        .offset:         32
        .size:           8
        .value_kind:     global_buffer
      - .address_space:  global
        .offset:         40
        .size:           8
        .value_kind:     global_buffer
      - .offset:         48
        .size:           4
        .value_kind:     hidden_block_count_x
      - .offset:         52
        .size:           4
        .value_kind:     hidden_block_count_y
      - .offset:         56
        .size:           4
        .value_kind:     hidden_block_count_z
      - .offset:         60
        .size:           2
        .value_kind:     hidden_group_size_x
      - .offset:         62
        .size:           2
        .value_kind:     hidden_group_size_y
      - .offset:         64
        .size:           2
        .value_kind:     hidden_group_size_z
      - .offset:         66
        .size:           2
        .value_kind:     hidden_remainder_x
      - .offset:         68
        .size:           2
        .value_kind:     hidden_remainder_y
      - .offset:         70
        .size:           2
        .value_kind:     hidden_remainder_z
      - .offset:         88
        .size:           8
        .value_kind:     hidden_global_offset_x
      - .offset:         96
        .size:           8
        .value_kind:     hidden_global_offset_y
      - .offset:         104
        .size:           8
        .value_kind:     hidden_global_offset_z
      - .offset:         112
        .size:           2
        .value_kind:     hidden_grid_dims
    .group_segment_fixed_size: 0
    .kernarg_segment_align: 8
    .kernarg_segment_size: 304
    .language:       OpenCL C
    .language_version:
      - 2
      - 0
    .max_flat_workgroup_size: 256
    .name:           _ZN7rocprim17ROCPRIM_400000_NS6detail25reduce_by_key_init_kernelINS1_19lookback_scan_stateINS0_5tupleIJjfEEELb0ELb1EEEfNS1_16block_id_wrapperIjLb1EEEEEvT_jbjPmPT0_T1_
    .private_segment_fixed_size: 0
    .sgpr_count:     20
    .sgpr_spill_count: 0
    .symbol:         _ZN7rocprim17ROCPRIM_400000_NS6detail25reduce_by_key_init_kernelINS1_19lookback_scan_stateINS0_5tupleIJjfEEELb0ELb1EEEfNS1_16block_id_wrapperIjLb1EEEEEvT_jbjPmPT0_T1_.kd
    .uniform_work_group_size: 1
    .uses_dynamic_stack: false
    .vgpr_count:     11
    .vgpr_spill_count: 0
    .wavefront_size: 32
    .workgroup_processor_mode: 1
  - .args:
      - .offset:         0
        .size:           120
        .value_kind:     by_value
    .group_segment_fixed_size: 0
    .kernarg_segment_align: 8
    .kernarg_segment_size: 120
    .language:       OpenCL C
    .language_version:
      - 2
      - 0
    .max_flat_workgroup_size: 256
    .name:           _ZN7rocprim17ROCPRIM_400000_NS6detail17trampoline_kernelINS0_14default_configENS1_29reduce_by_key_config_selectorIifN6thrust23THRUST_200600_302600_NS4plusIfEEEEZZNS1_33reduce_by_key_impl_wrapped_configILNS1_25lookback_scan_determinismE0ES3_S9_NS6_6detail15normal_iteratorINS6_10device_ptrIiEEEENSD_INSE_IfEEEESG_SI_PmS8_NS6_8equal_toIiEEEE10hipError_tPvRmT2_T3_mT4_T5_T6_T7_T8_P12ihipStream_tbENKUlT_T0_E_clISt17integral_constantIbLb0EES12_IbLb1EEEEDaSY_SZ_EUlSY_E_NS1_11comp_targetILNS1_3genE0ELNS1_11target_archE4294967295ELNS1_3gpuE0ELNS1_3repE0EEENS1_30default_config_static_selectorELNS0_4arch9wavefront6targetE0EEEvT1_
    .private_segment_fixed_size: 0
    .sgpr_count:     0
    .sgpr_spill_count: 0
    .symbol:         _ZN7rocprim17ROCPRIM_400000_NS6detail17trampoline_kernelINS0_14default_configENS1_29reduce_by_key_config_selectorIifN6thrust23THRUST_200600_302600_NS4plusIfEEEEZZNS1_33reduce_by_key_impl_wrapped_configILNS1_25lookback_scan_determinismE0ES3_S9_NS6_6detail15normal_iteratorINS6_10device_ptrIiEEEENSD_INSE_IfEEEESG_SI_PmS8_NS6_8equal_toIiEEEE10hipError_tPvRmT2_T3_mT4_T5_T6_T7_T8_P12ihipStream_tbENKUlT_T0_E_clISt17integral_constantIbLb0EES12_IbLb1EEEEDaSY_SZ_EUlSY_E_NS1_11comp_targetILNS1_3genE0ELNS1_11target_archE4294967295ELNS1_3gpuE0ELNS1_3repE0EEENS1_30default_config_static_selectorELNS0_4arch9wavefront6targetE0EEEvT1_.kd
    .uniform_work_group_size: 1
    .uses_dynamic_stack: false
    .vgpr_count:     0
    .vgpr_spill_count: 0
    .wavefront_size: 32
    .workgroup_processor_mode: 1
  - .args:
      - .offset:         0
        .size:           120
        .value_kind:     by_value
    .group_segment_fixed_size: 0
    .kernarg_segment_align: 8
    .kernarg_segment_size: 120
    .language:       OpenCL C
    .language_version:
      - 2
      - 0
    .max_flat_workgroup_size: 256
    .name:           _ZN7rocprim17ROCPRIM_400000_NS6detail17trampoline_kernelINS0_14default_configENS1_29reduce_by_key_config_selectorIifN6thrust23THRUST_200600_302600_NS4plusIfEEEEZZNS1_33reduce_by_key_impl_wrapped_configILNS1_25lookback_scan_determinismE0ES3_S9_NS6_6detail15normal_iteratorINS6_10device_ptrIiEEEENSD_INSE_IfEEEESG_SI_PmS8_NS6_8equal_toIiEEEE10hipError_tPvRmT2_T3_mT4_T5_T6_T7_T8_P12ihipStream_tbENKUlT_T0_E_clISt17integral_constantIbLb0EES12_IbLb1EEEEDaSY_SZ_EUlSY_E_NS1_11comp_targetILNS1_3genE5ELNS1_11target_archE942ELNS1_3gpuE9ELNS1_3repE0EEENS1_30default_config_static_selectorELNS0_4arch9wavefront6targetE0EEEvT1_
    .private_segment_fixed_size: 0
    .sgpr_count:     0
    .sgpr_spill_count: 0
    .symbol:         _ZN7rocprim17ROCPRIM_400000_NS6detail17trampoline_kernelINS0_14default_configENS1_29reduce_by_key_config_selectorIifN6thrust23THRUST_200600_302600_NS4plusIfEEEEZZNS1_33reduce_by_key_impl_wrapped_configILNS1_25lookback_scan_determinismE0ES3_S9_NS6_6detail15normal_iteratorINS6_10device_ptrIiEEEENSD_INSE_IfEEEESG_SI_PmS8_NS6_8equal_toIiEEEE10hipError_tPvRmT2_T3_mT4_T5_T6_T7_T8_P12ihipStream_tbENKUlT_T0_E_clISt17integral_constantIbLb0EES12_IbLb1EEEEDaSY_SZ_EUlSY_E_NS1_11comp_targetILNS1_3genE5ELNS1_11target_archE942ELNS1_3gpuE9ELNS1_3repE0EEENS1_30default_config_static_selectorELNS0_4arch9wavefront6targetE0EEEvT1_.kd
    .uniform_work_group_size: 1
    .uses_dynamic_stack: false
    .vgpr_count:     0
    .vgpr_spill_count: 0
    .wavefront_size: 32
    .workgroup_processor_mode: 1
  - .args:
      - .offset:         0
        .size:           120
        .value_kind:     by_value
    .group_segment_fixed_size: 0
    .kernarg_segment_align: 8
    .kernarg_segment_size: 120
    .language:       OpenCL C
    .language_version:
      - 2
      - 0
    .max_flat_workgroup_size: 256
    .name:           _ZN7rocprim17ROCPRIM_400000_NS6detail17trampoline_kernelINS0_14default_configENS1_29reduce_by_key_config_selectorIifN6thrust23THRUST_200600_302600_NS4plusIfEEEEZZNS1_33reduce_by_key_impl_wrapped_configILNS1_25lookback_scan_determinismE0ES3_S9_NS6_6detail15normal_iteratorINS6_10device_ptrIiEEEENSD_INSE_IfEEEESG_SI_PmS8_NS6_8equal_toIiEEEE10hipError_tPvRmT2_T3_mT4_T5_T6_T7_T8_P12ihipStream_tbENKUlT_T0_E_clISt17integral_constantIbLb0EES12_IbLb1EEEEDaSY_SZ_EUlSY_E_NS1_11comp_targetILNS1_3genE4ELNS1_11target_archE910ELNS1_3gpuE8ELNS1_3repE0EEENS1_30default_config_static_selectorELNS0_4arch9wavefront6targetE0EEEvT1_
    .private_segment_fixed_size: 0
    .sgpr_count:     0
    .sgpr_spill_count: 0
    .symbol:         _ZN7rocprim17ROCPRIM_400000_NS6detail17trampoline_kernelINS0_14default_configENS1_29reduce_by_key_config_selectorIifN6thrust23THRUST_200600_302600_NS4plusIfEEEEZZNS1_33reduce_by_key_impl_wrapped_configILNS1_25lookback_scan_determinismE0ES3_S9_NS6_6detail15normal_iteratorINS6_10device_ptrIiEEEENSD_INSE_IfEEEESG_SI_PmS8_NS6_8equal_toIiEEEE10hipError_tPvRmT2_T3_mT4_T5_T6_T7_T8_P12ihipStream_tbENKUlT_T0_E_clISt17integral_constantIbLb0EES12_IbLb1EEEEDaSY_SZ_EUlSY_E_NS1_11comp_targetILNS1_3genE4ELNS1_11target_archE910ELNS1_3gpuE8ELNS1_3repE0EEENS1_30default_config_static_selectorELNS0_4arch9wavefront6targetE0EEEvT1_.kd
    .uniform_work_group_size: 1
    .uses_dynamic_stack: false
    .vgpr_count:     0
    .vgpr_spill_count: 0
    .wavefront_size: 32
    .workgroup_processor_mode: 1
  - .args:
      - .offset:         0
        .size:           120
        .value_kind:     by_value
    .group_segment_fixed_size: 0
    .kernarg_segment_align: 8
    .kernarg_segment_size: 120
    .language:       OpenCL C
    .language_version:
      - 2
      - 0
    .max_flat_workgroup_size: 256
    .name:           _ZN7rocprim17ROCPRIM_400000_NS6detail17trampoline_kernelINS0_14default_configENS1_29reduce_by_key_config_selectorIifN6thrust23THRUST_200600_302600_NS4plusIfEEEEZZNS1_33reduce_by_key_impl_wrapped_configILNS1_25lookback_scan_determinismE0ES3_S9_NS6_6detail15normal_iteratorINS6_10device_ptrIiEEEENSD_INSE_IfEEEESG_SI_PmS8_NS6_8equal_toIiEEEE10hipError_tPvRmT2_T3_mT4_T5_T6_T7_T8_P12ihipStream_tbENKUlT_T0_E_clISt17integral_constantIbLb0EES12_IbLb1EEEEDaSY_SZ_EUlSY_E_NS1_11comp_targetILNS1_3genE3ELNS1_11target_archE908ELNS1_3gpuE7ELNS1_3repE0EEENS1_30default_config_static_selectorELNS0_4arch9wavefront6targetE0EEEvT1_
    .private_segment_fixed_size: 0
    .sgpr_count:     0
    .sgpr_spill_count: 0
    .symbol:         _ZN7rocprim17ROCPRIM_400000_NS6detail17trampoline_kernelINS0_14default_configENS1_29reduce_by_key_config_selectorIifN6thrust23THRUST_200600_302600_NS4plusIfEEEEZZNS1_33reduce_by_key_impl_wrapped_configILNS1_25lookback_scan_determinismE0ES3_S9_NS6_6detail15normal_iteratorINS6_10device_ptrIiEEEENSD_INSE_IfEEEESG_SI_PmS8_NS6_8equal_toIiEEEE10hipError_tPvRmT2_T3_mT4_T5_T6_T7_T8_P12ihipStream_tbENKUlT_T0_E_clISt17integral_constantIbLb0EES12_IbLb1EEEEDaSY_SZ_EUlSY_E_NS1_11comp_targetILNS1_3genE3ELNS1_11target_archE908ELNS1_3gpuE7ELNS1_3repE0EEENS1_30default_config_static_selectorELNS0_4arch9wavefront6targetE0EEEvT1_.kd
    .uniform_work_group_size: 1
    .uses_dynamic_stack: false
    .vgpr_count:     0
    .vgpr_spill_count: 0
    .wavefront_size: 32
    .workgroup_processor_mode: 1
  - .args:
      - .offset:         0
        .size:           120
        .value_kind:     by_value
    .group_segment_fixed_size: 0
    .kernarg_segment_align: 8
    .kernarg_segment_size: 120
    .language:       OpenCL C
    .language_version:
      - 2
      - 0
    .max_flat_workgroup_size: 256
    .name:           _ZN7rocprim17ROCPRIM_400000_NS6detail17trampoline_kernelINS0_14default_configENS1_29reduce_by_key_config_selectorIifN6thrust23THRUST_200600_302600_NS4plusIfEEEEZZNS1_33reduce_by_key_impl_wrapped_configILNS1_25lookback_scan_determinismE0ES3_S9_NS6_6detail15normal_iteratorINS6_10device_ptrIiEEEENSD_INSE_IfEEEESG_SI_PmS8_NS6_8equal_toIiEEEE10hipError_tPvRmT2_T3_mT4_T5_T6_T7_T8_P12ihipStream_tbENKUlT_T0_E_clISt17integral_constantIbLb0EES12_IbLb1EEEEDaSY_SZ_EUlSY_E_NS1_11comp_targetILNS1_3genE2ELNS1_11target_archE906ELNS1_3gpuE6ELNS1_3repE0EEENS1_30default_config_static_selectorELNS0_4arch9wavefront6targetE0EEEvT1_
    .private_segment_fixed_size: 0
    .sgpr_count:     0
    .sgpr_spill_count: 0
    .symbol:         _ZN7rocprim17ROCPRIM_400000_NS6detail17trampoline_kernelINS0_14default_configENS1_29reduce_by_key_config_selectorIifN6thrust23THRUST_200600_302600_NS4plusIfEEEEZZNS1_33reduce_by_key_impl_wrapped_configILNS1_25lookback_scan_determinismE0ES3_S9_NS6_6detail15normal_iteratorINS6_10device_ptrIiEEEENSD_INSE_IfEEEESG_SI_PmS8_NS6_8equal_toIiEEEE10hipError_tPvRmT2_T3_mT4_T5_T6_T7_T8_P12ihipStream_tbENKUlT_T0_E_clISt17integral_constantIbLb0EES12_IbLb1EEEEDaSY_SZ_EUlSY_E_NS1_11comp_targetILNS1_3genE2ELNS1_11target_archE906ELNS1_3gpuE6ELNS1_3repE0EEENS1_30default_config_static_selectorELNS0_4arch9wavefront6targetE0EEEvT1_.kd
    .uniform_work_group_size: 1
    .uses_dynamic_stack: false
    .vgpr_count:     0
    .vgpr_spill_count: 0
    .wavefront_size: 32
    .workgroup_processor_mode: 1
  - .args:
      - .offset:         0
        .size:           120
        .value_kind:     by_value
    .group_segment_fixed_size: 0
    .kernarg_segment_align: 8
    .kernarg_segment_size: 120
    .language:       OpenCL C
    .language_version:
      - 2
      - 0
    .max_flat_workgroup_size: 256
    .name:           _ZN7rocprim17ROCPRIM_400000_NS6detail17trampoline_kernelINS0_14default_configENS1_29reduce_by_key_config_selectorIifN6thrust23THRUST_200600_302600_NS4plusIfEEEEZZNS1_33reduce_by_key_impl_wrapped_configILNS1_25lookback_scan_determinismE0ES3_S9_NS6_6detail15normal_iteratorINS6_10device_ptrIiEEEENSD_INSE_IfEEEESG_SI_PmS8_NS6_8equal_toIiEEEE10hipError_tPvRmT2_T3_mT4_T5_T6_T7_T8_P12ihipStream_tbENKUlT_T0_E_clISt17integral_constantIbLb0EES12_IbLb1EEEEDaSY_SZ_EUlSY_E_NS1_11comp_targetILNS1_3genE10ELNS1_11target_archE1201ELNS1_3gpuE5ELNS1_3repE0EEENS1_30default_config_static_selectorELNS0_4arch9wavefront6targetE0EEEvT1_
    .private_segment_fixed_size: 0
    .sgpr_count:     0
    .sgpr_spill_count: 0
    .symbol:         _ZN7rocprim17ROCPRIM_400000_NS6detail17trampoline_kernelINS0_14default_configENS1_29reduce_by_key_config_selectorIifN6thrust23THRUST_200600_302600_NS4plusIfEEEEZZNS1_33reduce_by_key_impl_wrapped_configILNS1_25lookback_scan_determinismE0ES3_S9_NS6_6detail15normal_iteratorINS6_10device_ptrIiEEEENSD_INSE_IfEEEESG_SI_PmS8_NS6_8equal_toIiEEEE10hipError_tPvRmT2_T3_mT4_T5_T6_T7_T8_P12ihipStream_tbENKUlT_T0_E_clISt17integral_constantIbLb0EES12_IbLb1EEEEDaSY_SZ_EUlSY_E_NS1_11comp_targetILNS1_3genE10ELNS1_11target_archE1201ELNS1_3gpuE5ELNS1_3repE0EEENS1_30default_config_static_selectorELNS0_4arch9wavefront6targetE0EEEvT1_.kd
    .uniform_work_group_size: 1
    .uses_dynamic_stack: false
    .vgpr_count:     0
    .vgpr_spill_count: 0
    .wavefront_size: 32
    .workgroup_processor_mode: 1
  - .args:
      - .offset:         0
        .size:           120
        .value_kind:     by_value
    .group_segment_fixed_size: 0
    .kernarg_segment_align: 8
    .kernarg_segment_size: 120
    .language:       OpenCL C
    .language_version:
      - 2
      - 0
    .max_flat_workgroup_size: 256
    .name:           _ZN7rocprim17ROCPRIM_400000_NS6detail17trampoline_kernelINS0_14default_configENS1_29reduce_by_key_config_selectorIifN6thrust23THRUST_200600_302600_NS4plusIfEEEEZZNS1_33reduce_by_key_impl_wrapped_configILNS1_25lookback_scan_determinismE0ES3_S9_NS6_6detail15normal_iteratorINS6_10device_ptrIiEEEENSD_INSE_IfEEEESG_SI_PmS8_NS6_8equal_toIiEEEE10hipError_tPvRmT2_T3_mT4_T5_T6_T7_T8_P12ihipStream_tbENKUlT_T0_E_clISt17integral_constantIbLb0EES12_IbLb1EEEEDaSY_SZ_EUlSY_E_NS1_11comp_targetILNS1_3genE10ELNS1_11target_archE1200ELNS1_3gpuE4ELNS1_3repE0EEENS1_30default_config_static_selectorELNS0_4arch9wavefront6targetE0EEEvT1_
    .private_segment_fixed_size: 0
    .sgpr_count:     0
    .sgpr_spill_count: 0
    .symbol:         _ZN7rocprim17ROCPRIM_400000_NS6detail17trampoline_kernelINS0_14default_configENS1_29reduce_by_key_config_selectorIifN6thrust23THRUST_200600_302600_NS4plusIfEEEEZZNS1_33reduce_by_key_impl_wrapped_configILNS1_25lookback_scan_determinismE0ES3_S9_NS6_6detail15normal_iteratorINS6_10device_ptrIiEEEENSD_INSE_IfEEEESG_SI_PmS8_NS6_8equal_toIiEEEE10hipError_tPvRmT2_T3_mT4_T5_T6_T7_T8_P12ihipStream_tbENKUlT_T0_E_clISt17integral_constantIbLb0EES12_IbLb1EEEEDaSY_SZ_EUlSY_E_NS1_11comp_targetILNS1_3genE10ELNS1_11target_archE1200ELNS1_3gpuE4ELNS1_3repE0EEENS1_30default_config_static_selectorELNS0_4arch9wavefront6targetE0EEEvT1_.kd
    .uniform_work_group_size: 1
    .uses_dynamic_stack: false
    .vgpr_count:     0
    .vgpr_spill_count: 0
    .wavefront_size: 32
    .workgroup_processor_mode: 1
  - .args:
      - .offset:         0
        .size:           120
        .value_kind:     by_value
    .group_segment_fixed_size: 0
    .kernarg_segment_align: 8
    .kernarg_segment_size: 120
    .language:       OpenCL C
    .language_version:
      - 2
      - 0
    .max_flat_workgroup_size: 256
    .name:           _ZN7rocprim17ROCPRIM_400000_NS6detail17trampoline_kernelINS0_14default_configENS1_29reduce_by_key_config_selectorIifN6thrust23THRUST_200600_302600_NS4plusIfEEEEZZNS1_33reduce_by_key_impl_wrapped_configILNS1_25lookback_scan_determinismE0ES3_S9_NS6_6detail15normal_iteratorINS6_10device_ptrIiEEEENSD_INSE_IfEEEESG_SI_PmS8_NS6_8equal_toIiEEEE10hipError_tPvRmT2_T3_mT4_T5_T6_T7_T8_P12ihipStream_tbENKUlT_T0_E_clISt17integral_constantIbLb0EES12_IbLb1EEEEDaSY_SZ_EUlSY_E_NS1_11comp_targetILNS1_3genE9ELNS1_11target_archE1100ELNS1_3gpuE3ELNS1_3repE0EEENS1_30default_config_static_selectorELNS0_4arch9wavefront6targetE0EEEvT1_
    .private_segment_fixed_size: 0
    .sgpr_count:     0
    .sgpr_spill_count: 0
    .symbol:         _ZN7rocprim17ROCPRIM_400000_NS6detail17trampoline_kernelINS0_14default_configENS1_29reduce_by_key_config_selectorIifN6thrust23THRUST_200600_302600_NS4plusIfEEEEZZNS1_33reduce_by_key_impl_wrapped_configILNS1_25lookback_scan_determinismE0ES3_S9_NS6_6detail15normal_iteratorINS6_10device_ptrIiEEEENSD_INSE_IfEEEESG_SI_PmS8_NS6_8equal_toIiEEEE10hipError_tPvRmT2_T3_mT4_T5_T6_T7_T8_P12ihipStream_tbENKUlT_T0_E_clISt17integral_constantIbLb0EES12_IbLb1EEEEDaSY_SZ_EUlSY_E_NS1_11comp_targetILNS1_3genE9ELNS1_11target_archE1100ELNS1_3gpuE3ELNS1_3repE0EEENS1_30default_config_static_selectorELNS0_4arch9wavefront6targetE0EEEvT1_.kd
    .uniform_work_group_size: 1
    .uses_dynamic_stack: false
    .vgpr_count:     0
    .vgpr_spill_count: 0
    .wavefront_size: 32
    .workgroup_processor_mode: 1
  - .args:
      - .offset:         0
        .size:           120
        .value_kind:     by_value
    .group_segment_fixed_size: 15360
    .kernarg_segment_align: 8
    .kernarg_segment_size: 120
    .language:       OpenCL C
    .language_version:
      - 2
      - 0
    .max_flat_workgroup_size: 256
    .name:           _ZN7rocprim17ROCPRIM_400000_NS6detail17trampoline_kernelINS0_14default_configENS1_29reduce_by_key_config_selectorIifN6thrust23THRUST_200600_302600_NS4plusIfEEEEZZNS1_33reduce_by_key_impl_wrapped_configILNS1_25lookback_scan_determinismE0ES3_S9_NS6_6detail15normal_iteratorINS6_10device_ptrIiEEEENSD_INSE_IfEEEESG_SI_PmS8_NS6_8equal_toIiEEEE10hipError_tPvRmT2_T3_mT4_T5_T6_T7_T8_P12ihipStream_tbENKUlT_T0_E_clISt17integral_constantIbLb0EES12_IbLb1EEEEDaSY_SZ_EUlSY_E_NS1_11comp_targetILNS1_3genE8ELNS1_11target_archE1030ELNS1_3gpuE2ELNS1_3repE0EEENS1_30default_config_static_selectorELNS0_4arch9wavefront6targetE0EEEvT1_
    .private_segment_fixed_size: 0
    .sgpr_count:     46
    .sgpr_spill_count: 0
    .symbol:         _ZN7rocprim17ROCPRIM_400000_NS6detail17trampoline_kernelINS0_14default_configENS1_29reduce_by_key_config_selectorIifN6thrust23THRUST_200600_302600_NS4plusIfEEEEZZNS1_33reduce_by_key_impl_wrapped_configILNS1_25lookback_scan_determinismE0ES3_S9_NS6_6detail15normal_iteratorINS6_10device_ptrIiEEEENSD_INSE_IfEEEESG_SI_PmS8_NS6_8equal_toIiEEEE10hipError_tPvRmT2_T3_mT4_T5_T6_T7_T8_P12ihipStream_tbENKUlT_T0_E_clISt17integral_constantIbLb0EES12_IbLb1EEEEDaSY_SZ_EUlSY_E_NS1_11comp_targetILNS1_3genE8ELNS1_11target_archE1030ELNS1_3gpuE2ELNS1_3repE0EEENS1_30default_config_static_selectorELNS0_4arch9wavefront6targetE0EEEvT1_.kd
    .uniform_work_group_size: 1
    .uses_dynamic_stack: false
    .vgpr_count:     86
    .vgpr_spill_count: 0
    .wavefront_size: 32
    .workgroup_processor_mode: 1
amdhsa.target:   amdgcn-amd-amdhsa--gfx1030
amdhsa.version:
  - 1
  - 2
...

	.end_amdgpu_metadata
